;; amdgpu-corpus repo=ROCm/aiter kind=harvested arch=n/a opt=n/a

/root/src/amdgpu-assembly/repos/ROCm__aiter/hsa/gfx950/fmoe_2stages/fmoe_stage1_bf16_pertokenInt8_g1u1_48x256_pf2.co:	file format elf64-amdgpu

Disassembly of section .text:

0000000000002a00 <_ZN5aiter45fmoe_stage1_bf16_pertokenInt8_g1u1_48x256_pf2E>:
	s_and_b32 s1, s1, 0xffff                                   // 000000002A00: 8601FF01 0000FFFF
	s_load_dwordx2 s[8:9], s[0:1], 0x0                         // 000000002A08: C0060200 00000000
	s_load_dwordx2 s[20:21], s[0:1], 0x10                      // 000000002A10: C0060500 00000010
	s_load_dwordx2 s[24:25], s[0:1], 0x20                      // 000000002A18: C0060600 00000020
	s_load_dwordx2 s[48:49], s[0:1], 0x30                      // 000000002A20: C0060C00 00000030
	s_load_dwordx2 s[28:29], s[0:1], 0x40                      // 000000002A28: C0060700 00000040
	s_load_dwordx2 s[32:33], s[0:1], 0x50                      // 000000002A30: C0060800 00000050
	s_load_dwordx2 s[36:37], s[0:1], 0x60                      // 000000002A38: C0060900 00000060
	s_load_dwordx2 s[12:13], s[0:1], 0x70                      // 000000002A40: C0060300 00000070
	s_load_dwordx2 s[44:45], s[0:1], 0x80                      // 000000002A48: C0060B00 00000080
	s_mov_b32 s89, 0                                           // 000000002A50: BED90080
	s_load_dword s64, s[0:1], 0x90                             // 000000002A54: C0021000 00000090
	s_load_dword s65, s[0:1], 0xa0                             // 000000002A5C: C0021040 000000A0
	s_load_dword s66, s[0:1], 0xb0                             // 000000002A64: C0021080 000000B0
	s_load_dword s67, s[0:1], 0xc0                             // 000000002A6C: C00210C0 000000C0
	s_load_dword s68, s[0:1], 0xd0                             // 000000002A74: C0021100 000000D0
	s_load_dword s69, s[0:1], 0xe0                             // 000000002A7C: C0021140 000000E0
	s_load_dword s71, s[0:1], 0xf0                             // 000000002A84: C00211C0 000000F0
	s_load_dword s72, s[0:1], 0x100                            // 000000002A8C: C0021200 00000100
	s_load_dword s74, s[0:1], 0x110                            // 000000002A94: C0021280 00000110
	s_load_dword s76, s[0:1], 0x120                            // 000000002A9C: C0021300 00000120
	s_load_dword s56, s[0:1], 0x130                            // 000000002AA4: C0020E00 00000130
	s_load_dword s88, s[0:1], 0x140                            // 000000002AAC: C0021600 00000140
	s_load_dword s89, s[0:1], 0x150                            // 000000002AB4: C0021640 00000150
	v_lshrrev_b32_e32 v1, 10, v0                               // 000000002ABC: 2002008A
	v_lshrrev_b32_e32 v2, 10, v1                               // 000000002AC0: 2004028A
	v_and_b32_e32 v2, 0x3ff, v2                                // 000000002AC4: 260404FF 000003FF
	v_and_b32_e32 v1, 0x3ff, v1                                // 000000002ACC: 260202FF 000003FF
	v_and_b32_e32 v0, 0x3ff, v0                                // 000000002AD4: 260000FF 000003FF
	v_lshrrev_b32_e32 v3, 6, v0                                // 000000002ADC: 20060086
	v_and_b32_e32 v0, 63, v0                                   // 000000002AE0: 260000BF
	s_mov_b32 s2, s2                                           // 000000002AE4: BE820002
	s_mov_b32 s3, s3                                           // 000000002AE8: BE830003
	s_mov_b32 s4, s4                                           // 000000002AEC: BE840004
	v_readfirstlane_b32 s7, v3                                 // 000000002AF0: 7E0E0503
	s_waitcnt lgkmcnt(0)                                       // 000000002AF4: BF8CC07F
	s_and_b32 s49, s49, 0xffff                                 // 000000002AF8: 8631FF31 0000FFFF
	s_load_dword s48, s[48:49], 0x0                            // 000000002B00: C0020C18 00000000
	s_and_b32 s45, s45, 0xffff                                 // 000000002B08: 862DFF2D 0000FFFF
	s_and_b32 s9, s9, 0xffff                                   // 000000002B10: 8609FF09 0000FFFF
	s_mul_i32 s60, s66, s68                                    // 000000002B18: 923C4442
	s_mul_i32 s61, s66, 4                                      // 000000002B1C: 923D8442
	s_mov_b32 s22, s60                                         // 000000002B20: BE96003C
	s_mov_b32 s26, -16                                         // 000000002B24: BE9A00D0
	s_mov_b32 s30, s61                                         // 000000002B28: BE9E003D
	s_mov_b32 s14, 0xc0                                        // 000000002B2C: BE8E00FF 000000C0
	s_mov_b32 s38, -16                                         // 000000002B34: BEA600D0
	s_mov_b32 s10, -16                                         // 000000002B38: BE8A00D0
	s_mov_b32 s34, 0x400                                       // 000000002B3C: BEA200FF 00000400
	s_mov_b32 s23, 0x20000                                     // 000000002B44: BE9700FF 00020000
	s_mov_b32 s27, 0x20000                                     // 000000002B4C: BE9B00FF 00020000
	s_mov_b32 s31, 0x20000                                     // 000000002B54: BE9F00FF 00020000
	s_mov_b32 s35, 0x20000                                     // 000000002B5C: BEA300FF 00020000
	s_mov_b32 s15, 0x20000                                     // 000000002B64: BE8F00FF 00020000
	s_mov_b32 s39, 0x20000                                     // 000000002B6C: BEA700FF 00020000
	s_mov_b32 s11, 0x20000                                     // 000000002B74: BE8B00FF 00020000
	s_and_b32 s21, s21, 0xffff                                 // 000000002B7C: 8615FF15 0000FFFF
	s_and_b32 s25, s25, 0xffff                                 // 000000002B84: 8619FF19 0000FFFF
	s_and_b32 s29, s29, 0xffff                                 // 000000002B8C: 861DFF1D 0000FFFF
	s_and_b32 s33, s33, 0xffff                                 // 000000002B94: 8621FF21 0000FFFF
	s_and_b32 s13, s13, 0xffff                                 // 000000002B9C: 860DFF0D 0000FFFF
	s_and_b32 s37, s37, 0xffff                                 // 000000002BA4: 8625FF25 0000FFFF
	s_or_b32 s21, s21, 0x40000                                 // 000000002BAC: 8715FF15 00040000
	s_or_b32 s25, s25, 0x40000                                 // 000000002BB4: 8719FF19 00040000
	s_or_b32 s29, s29, 0x40000                                 // 000000002BBC: 871DFF1D 00040000
	s_or_b32 s33, s33, 0x40000                                 // 000000002BC4: 8721FF21 00040000
	s_or_b32 s13, s13, 0x40000                                 // 000000002BCC: 870DFF0D 00040000
	s_or_b32 s37, s37, 0x40000                                 // 000000002BD4: 8725FF25 00040000
	v_accvgpr_write_b32 a111, 0                                // 000000002BDC: D3D9406F 18000080
	v_mov_b32_e32 v147, 0                                      // 000000002BE4: 7F260280
	s_waitcnt lgkmcnt(0)                                       // 000000002BE8: BF8CC07F
	s_mul_i32 s60, s3, 48                                      // 000000002BEC: 923CB003
	s_cmp_lt_i32 s60, s48                                      // 000000002BF0: BF04303C
	s_cbranch_scc0 label_1E4E                                  // 000000002BF4: BF841DCD
	s_mov_b32 s80, 0                                           // 000000002BF8: BED00080
	s_lshr_b32 s81, s64, s88                                   // 000000002BFC: 8F515840
	s_mul_i32 s60, s3, 4                                       // 000000002C00: 923C8403
	s_add_u32 s44, s60, s44                                    // 000000002C04: 802C2C3C
	s_addc_u32 s45, 0, s45                                     // 000000002C08: 822D2D80
	s_load_dword s5, s[44:45], 0x0                             // 000000002C0C: C0020156 00000000
	s_mul_i32 s60, s3, 48                                      // 000000002C14: 923CB003
	s_mul_i32 s60, 4, s60                                      // 000000002C18: 923C3C84
	s_add_u32 s12, s60, s12                                    // 000000002C1C: 800C0C3C
	s_addc_u32 s13, 0, s13                                     // 000000002C20: 820D0D80
	v_and_b32_e32 v4, 15, v0                                   // 000000002C24: 2608008F
	v_lshlrev_b32_e32 v4, 2, v4                                // 000000002C28: 24080882
	buffer_load_dword v28, v4, s[12:15], 0 offen               // 000000002C2C: E0501000 80031C04
	v_add_u32_e32 v4, 64, v4                                   // 000000002C34: 680808C0
	buffer_load_dword v29, v4, s[12:15], 0 offen               // 000000002C38: E0501000 80031D04
	v_add_u32_e32 v4, 64, v4                                   // 000000002C40: 680808C0
	buffer_load_dword v30, v4, s[12:15], 0 offen               // 000000002C44: E0501000 80031E04
	v_add_u32_e32 v4, 64, v4                                   // 000000002C4C: 680808C0
	s_mul_i32 s60, 4, s7                                       // 000000002C50: 923C0784
	v_lshlrev_b32_e32 v4, 4, v0                                // 000000002C54: 24080084
	v_add_u32_e32 v4, s60, v4                                  // 000000002C58: 6808083C
	buffer_load_dword v3, v4, s[12:15], 0 offen                // 000000002C5C: E0501000 80030304
	v_mov_b32_e32 v52, 0                                       // 000000002C64: 7E680280
	v_mov_b32_e32 v100, 0                                      // 000000002C68: 7EC80280
	v_mov_b32_e32 v53, 0                                       // 000000002C6C: 7E6A0280
	v_mov_b32_e32 v101, 0                                      // 000000002C70: 7ECA0280
	v_mov_b32_e32 v54, 0                                       // 000000002C74: 7E6C0280
	v_mov_b32_e32 v102, 0                                      // 000000002C78: 7ECC0280
	v_mov_b32_e32 v55, 0                                       // 000000002C7C: 7E6E0280
	v_mov_b32_e32 v103, 0                                      // 000000002C80: 7ECE0280
	v_mov_b32_e32 v56, 0                                       // 000000002C84: 7E700280
	v_mov_b32_e32 v104, 0                                      // 000000002C88: 7ED00280
	v_mov_b32_e32 v57, 0                                       // 000000002C8C: 7E720280
	v_mov_b32_e32 v105, 0                                      // 000000002C90: 7ED20280
	v_mov_b32_e32 v58, 0                                       // 000000002C94: 7E740280
	v_mov_b32_e32 v106, 0                                      // 000000002C98: 7ED40280
	v_mov_b32_e32 v59, 0                                       // 000000002C9C: 7E760280
	v_mov_b32_e32 v107, 0                                      // 000000002CA0: 7ED60280
	v_mov_b32_e32 v60, 0                                       // 000000002CA4: 7E780280
	v_mov_b32_e32 v108, 0                                      // 000000002CA8: 7ED80280
	v_mov_b32_e32 v61, 0                                       // 000000002CAC: 7E7A0280
	v_mov_b32_e32 v109, 0                                      // 000000002CB0: 7EDA0280
	v_mov_b32_e32 v62, 0                                       // 000000002CB4: 7E7C0280
	v_mov_b32_e32 v110, 0                                      // 000000002CB8: 7EDC0280
	v_mov_b32_e32 v63, 0                                       // 000000002CBC: 7E7E0280
	v_mov_b32_e32 v111, 0                                      // 000000002CC0: 7EDE0280
	v_mov_b32_e32 v64, 0                                       // 000000002CC4: 7E800280
	v_mov_b32_e32 v112, 0                                      // 000000002CC8: 7EE00280
	v_mov_b32_e32 v65, 0                                       // 000000002CCC: 7E820280
	v_mov_b32_e32 v113, 0                                      // 000000002CD0: 7EE20280
	v_mov_b32_e32 v66, 0                                       // 000000002CD4: 7E840280
	v_mov_b32_e32 v114, 0                                      // 000000002CD8: 7EE40280
	v_mov_b32_e32 v67, 0                                       // 000000002CDC: 7E860280
	v_mov_b32_e32 v115, 0                                      // 000000002CE0: 7EE60280
	v_mov_b32_e32 v68, 0                                       // 000000002CE4: 7E880280
	v_mov_b32_e32 v116, 0                                      // 000000002CE8: 7EE80280
	v_mov_b32_e32 v69, 0                                       // 000000002CEC: 7E8A0280
	v_mov_b32_e32 v117, 0                                      // 000000002CF0: 7EEA0280
	v_mov_b32_e32 v70, 0                                       // 000000002CF4: 7E8C0280
	v_mov_b32_e32 v118, 0                                      // 000000002CF8: 7EEC0280
	v_mov_b32_e32 v71, 0                                       // 000000002CFC: 7E8E0280
	v_mov_b32_e32 v119, 0                                      // 000000002D00: 7EEE0280
	v_mov_b32_e32 v72, 0                                       // 000000002D04: 7E900280
	v_mov_b32_e32 v120, 0                                      // 000000002D08: 7EF00280
	v_mov_b32_e32 v73, 0                                       // 000000002D0C: 7E920280
	v_mov_b32_e32 v121, 0                                      // 000000002D10: 7EF20280
	v_mov_b32_e32 v74, 0                                       // 000000002D14: 7E940280
	v_mov_b32_e32 v122, 0                                      // 000000002D18: 7EF40280
	v_mov_b32_e32 v75, 0                                       // 000000002D1C: 7E960280
	v_mov_b32_e32 v123, 0                                      // 000000002D20: 7EF60280
	v_mov_b32_e32 v76, 0                                       // 000000002D24: 7E980280
	v_mov_b32_e32 v124, 0                                      // 000000002D28: 7EF80280
	v_mov_b32_e32 v77, 0                                       // 000000002D2C: 7E9A0280
	v_mov_b32_e32 v125, 0                                      // 000000002D30: 7EFA0280
	v_mov_b32_e32 v78, 0                                       // 000000002D34: 7E9C0280
	v_mov_b32_e32 v126, 0                                      // 000000002D38: 7EFC0280
	v_mov_b32_e32 v79, 0                                       // 000000002D3C: 7E9E0280
	v_mov_b32_e32 v127, 0                                      // 000000002D40: 7EFE0280
	v_mov_b32_e32 v80, 0                                       // 000000002D44: 7EA00280
	v_mov_b32_e32 v128, 0                                      // 000000002D48: 7F000280
	v_mov_b32_e32 v81, 0                                       // 000000002D4C: 7EA20280
	v_mov_b32_e32 v129, 0                                      // 000000002D50: 7F020280
	v_mov_b32_e32 v82, 0                                       // 000000002D54: 7EA40280
	v_mov_b32_e32 v130, 0                                      // 000000002D58: 7F040280
	v_mov_b32_e32 v83, 0                                       // 000000002D5C: 7EA60280
	v_mov_b32_e32 v131, 0                                      // 000000002D60: 7F060280
	v_mov_b32_e32 v84, 0                                       // 000000002D64: 7EA80280
	v_mov_b32_e32 v132, 0                                      // 000000002D68: 7F080280
	v_mov_b32_e32 v85, 0                                       // 000000002D6C: 7EAA0280
	v_mov_b32_e32 v133, 0                                      // 000000002D70: 7F0A0280
	v_mov_b32_e32 v86, 0                                       // 000000002D74: 7EAC0280
	v_mov_b32_e32 v134, 0                                      // 000000002D78: 7F0C0280
	v_mov_b32_e32 v87, 0                                       // 000000002D7C: 7EAE0280
	v_mov_b32_e32 v135, 0                                      // 000000002D80: 7F0E0280
	v_mov_b32_e32 v88, 0                                       // 000000002D84: 7EB00280
	v_mov_b32_e32 v136, 0                                      // 000000002D88: 7F100280
	v_mov_b32_e32 v89, 0                                       // 000000002D8C: 7EB20280
	v_mov_b32_e32 v137, 0                                      // 000000002D90: 7F120280
	v_mov_b32_e32 v90, 0                                       // 000000002D94: 7EB40280
	v_mov_b32_e32 v138, 0                                      // 000000002D98: 7F140280
	v_mov_b32_e32 v91, 0                                       // 000000002D9C: 7EB60280
	v_mov_b32_e32 v139, 0                                      // 000000002DA0: 7F160280
	v_mov_b32_e32 v92, 0                                       // 000000002DA4: 7EB80280
	v_mov_b32_e32 v140, 0                                      // 000000002DA8: 7F180280
	v_mov_b32_e32 v93, 0                                       // 000000002DAC: 7EBA0280
	v_mov_b32_e32 v141, 0                                      // 000000002DB0: 7F1A0280
	v_mov_b32_e32 v94, 0                                       // 000000002DB4: 7EBC0280
	v_mov_b32_e32 v142, 0                                      // 000000002DB8: 7F1C0280
	v_mov_b32_e32 v95, 0                                       // 000000002DBC: 7EBE0280
	v_mov_b32_e32 v143, 0                                      // 000000002DC0: 7F1E0280
	v_mov_b32_e32 v96, 0                                       // 000000002DC4: 7EC00280
	v_mov_b32_e32 v144, 0                                      // 000000002DC8: 7F200280
	v_mov_b32_e32 v97, 0                                       // 000000002DCC: 7EC20280
	v_mov_b32_e32 v145, 0                                      // 000000002DD0: 7F220280
	v_mov_b32_e32 v98, 0                                       // 000000002DD4: 7EC40280
	v_mov_b32_e32 v146, 0                                      // 000000002DD8: 7F240280
	v_mov_b32_e32 v99, 0                                       // 000000002DDC: 7EC60280
	v_mov_b32_e32 v147, 0                                      // 000000002DE0: 7F260280
	s_mul_i32 s60, s2, 0x200                                   // 000000002DE4: 923CFF02 00000200
	s_cmp_eq_u32 s88, 0                                        // 000000002DEC: BF068058
	s_cselect_b32 s61, 1, 2                                    // 000000002DF0: 853D8281
	s_mul_i32 s60, s60, s61                                    // 000000002DF4: 923C3D3C
	s_mov_b32 s90, s8                                          // 000000002DF8: BEDA0008
	s_mov_b32 s91, s9                                          // 000000002DFC: BEDB0009
	s_add_u32 s8, s60, s8                                      // 000000002E00: 8008083C
	s_addc_u32 s9, 0, s9                                       // 000000002E04: 82090980
	v_lshrrev_b32_e32 v4, 4, v0                                // 000000002E08: 20080084
	v_mul_lo_u32 v20, 34, v4                                   // 000000002E0C: D2850014 000208A2
	v_and_b32_e32 v4, 15, v0                                   // 000000002E14: 2608008F
	v_mul_lo_u32 v5, 2, v4                                     // 000000002E18: D2850005 00020882
	v_add_u32_e32 v20, v5, v20                                 // 000000002E20: 68282905
	s_mul_i32 s60, s7, 0x88                                    // 000000002E24: 923CFF07 00000088
	v_add_u32_e32 v20, s60, v20                                // 000000002E2C: 6828283C
	v_lshlrev_b32_e32 v20, 2, v20                              // 000000002E30: 24282882
	v_and_b32_e32 v4, 31, v0                                   // 000000002E34: 2608009F
	v_lshrrev_b32_e32 v4, 1, v4                                // 000000002E38: 20080881
	v_mul_lo_u32 v21, 34, v4                                   // 000000002E3C: D2850015 000208A2
	v_lshrrev_b32_e32 v4, 5, v0                                // 000000002E44: 20080085
	v_mul_lo_u32 v4, 8, v4                                     // 000000002E48: D2850004 00020888
	v_add_u32_e32 v21, v21, v4                                 // 000000002E50: 682A0915
	v_and_b32_e32 v5, 1, v0                                    // 000000002E54: 260A0081
	v_add_u32_e32 v21, v5, v21                                 // 000000002E58: 682A2B05
	s_mul_i32 s60, s7, 2                                       // 000000002E5C: 923C8207
	v_add_u32_e32 v21, s60, v21                                // 000000002E60: 682A2A3C
	v_lshlrev_b32_e32 v21, 2, v21                              // 000000002E64: 242A2A82
	s_mul_i32 s60, s7, 0x620                                   // 000000002E68: 923CFF07 00000620
	s_add_u32 s48, 0, s60                                      // 000000002E70: 80303C80
	s_add_u32 s49, 0x1880, s48                                 // 000000002E74: 803130FF 00001880
	v_lshrrev_b32_e32 v4, 4, v0                                // 000000002E7C: 20080084
	v_lshlrev_b32_e32 v5, 2, v4                                // 000000002E80: 240A0882
	v_and_b32_e32 v4, 15, v0                                   // 000000002E84: 2608008F
	v_lshrrev_b32_e32 v6, 2, v4                                // 000000002E88: 200C0882
	v_lshlrev_b32_e32 v6, 5, v6                                // 000000002E8C: 240C0C85
	v_add_u32_e32 v5, v6, v5                                   // 000000002E90: 680A0B06
	v_and_b32_e32 v4, 3, v0                                    // 000000002E94: 26080083
	v_mul_u32_u24_e32 v6, 0x188, v4                            // 000000002E98: 100C08FF 00000188
	v_add_u32_e32 v5, v6, v5                                   // 000000002EA0: 680A0B06
	v_lshlrev_b32_e32 v2, 2, v5                                // 000000002EA4: 24040A82
	s_waitcnt lgkmcnt(0)                                       // 000000002EA8: BF8CC07F
	s_mul_i32 s60, s2, 0x100                                   // 000000002EAC: 923CFF02 00000100
	s_mul_i32 s60, s60, s69                                    // 000000002EB4: 923C453C
	s_mul_i32 s61, s5, s72                                     // 000000002EB8: 923D4805
	s_add_u32 s60, s61, s60                                    // 000000002EBC: 803C3C3D
	s_add_u32 s24, s60, s24                                    // 000000002EC0: 8018183C
	s_addc_u32 s25, 0, s25                                     // 000000002EC4: 82191980
	s_lshr_b32 s60, s64, s88                                   // 000000002EC8: 8F3C5840
	s_mul_i32 s60, s4, s60                                     // 000000002ECC: 923C3C04
	s_lshr_b32 s60, s60, 7                                     // 000000002ED0: 8F3C873C
	s_mul_i32 s60, s60, 0x800                                  // 000000002ED4: 923CFF3C 00000800
	s_add_u32 s24, s60, s24                                    // 000000002EDC: 8018183C
	s_addc_u32 s25, 0, s25                                     // 000000002EE0: 82191980
	s_lshr_b32 s60, s69, s88                                   // 000000002EE4: 8F3C5845
	s_mul_i32 s60, s4, s60                                     // 000000002EE8: 923C3C04
	s_add_u32 s20, s60, s20                                    // 000000002EEC: 8014143C
	s_addc_u32 s21, 0, s21                                     // 000000002EF0: 82151580
	s_mul_i32 s60, s7, 16                                      // 000000002EF4: 923C9007
	s_mul_i32 s60, s60, s69                                    // 000000002EF8: 923C453C
	v_lshlrev_b32_e32 v46, 4, v0                               // 000000002EFC: 245C0084
	v_add_u32_e32 v46, s60, v46                                // 000000002F00: 685C5C3C
	s_mul_i32 s60, 64, s69                                     // 000000002F04: 923C45C0
	v_add_u32_e32 v47, s60, v46                                // 000000002F08: 685E5C3C
	v_add_u32_e32 v48, s60, v47                                // 000000002F0C: 68605E3C
	v_add_u32_e32 v49, s60, v48                                // 000000002F10: 6862603C
	s_mov_b32 s84, s24                                         // 000000002F14: BED40018
	s_mov_b32 s85, s25                                         // 000000002F18: BED50019
	s_mov_b32 s86, s26                                         // 000000002F1C: BED6001A
	s_mov_b32 s87, s27                                         // 000000002F20: BED7001B
	s_mul_i32 s60, s69, s65                                    // 000000002F24: 923C4145
	s_add_u32 s84, s60, s84                                    // 000000002F28: 8054543C
	s_addc_u32 s85, 0, s85                                     // 000000002F2C: 82555580
	v_lshrrev_b32_e32 v4, 4, v0                                // 000000002F30: 20080084
	v_lshlrev_b32_e32 v5, 2, v4                                // 000000002F34: 240A0882
	v_and_b32_e32 v4, 15, v0                                   // 000000002F38: 2608008F
	v_lshrrev_b32_e32 v6, 2, v4                                // 000000002F3C: 200C0882
	v_lshlrev_b32_e32 v6, 6, v6                                // 000000002F40: 240C0C86
	v_add_u32_e32 v5, v6, v5                                   // 000000002F44: 680A0B06
	v_and_b32_e32 v4, 3, v0                                    // 000000002F48: 26080083
	v_add_u32_e32 v5, v4, v5                                   // 000000002F4C: 680A0B04
	v_lshlrev_b32_e32 v22, 2, v5                               // 000000002F50: 242C0A82
	s_mul_i32 s60, s7, 16                                      // 000000002F54: 923C9007
	s_mul_i32 s60, s60, 4                                      // 000000002F58: 923C843C
	v_add_u32_e32 v22, s60, v22                                // 000000002F5C: 682C2C3C
	s_mul_i32 s60, s2, 0x100                                   // 000000002F60: 923CFF02 00000100
	s_mul_i32 s60, s60, 4                                      // 000000002F68: 923C843C
	s_mul_i32 s61, s5, s74                                     // 000000002F6C: 923D4A05
	s_add_u32 s61, s61, s60                                    // 000000002F70: 803D3C3D
	s_add_u32 s32, s61, s32                                    // 000000002F74: 8020203D
	s_addc_u32 s33, 0, s33                                     // 000000002F78: 82212180
	s_mov_b32 s57, 0x80                                        // 000000002F7C: BEB900FF 00000080
	s_mov_b32 s58, 0x800                                       // 000000002F84: BEBA00FF 00000800
	s_mov_b32 s83, s58                                         // 000000002F8C: BED3003A
	s_mov_b32 s52, 0x7060302                                   // 000000002F90: BEB400FF 07060302
	s_mov_b32 s53, 0x400                                       // 000000002F98: BEB500FF 00000400
	s_mov_b32 s54, 0x40100                                     // 000000002FA0: BEB600FF 00040100
	s_mov_b32 s55, 0x4020100                                   // 000000002FA8: BEB700FF 04020100
	s_mov_b32 s6, 0x3fb8aa3b                                   // 000000002FB0: BE8600FF 3FB8AA3B
	s_mov_b32 s78, 0xbd92220c                                  // 000000002FB8: BECE00FF BD92220C
	s_mov_b32 s79, 0xbd92220c                                  // 000000002FC0: BECF00FF BD92220C
	s_mov_b32 m0, s48                                          // 000000002FC8: BEFC0030
	v_mov_b32_e32 v1, 0xbfcc4231                               // 000000002FCC: 7E0202FF BFCC4231
	v_mov_b32_e32 v17, 0xffff0000                              // 000000002FD4: 7E2202FF FFFF0000
	v_mov_b32_e32 v18, 0x7fff0000                              // 000000002FDC: 7E2402FF 7FFF0000
	v_mov_b32_e32 v19, 0x7fff                                  // 000000002FE4: 7E2602FF 00007FFF
	s_waitcnt vmcnt(0) expcnt(0) lgkmcnt(0)                    // 000000002FEC: BF8C0000
	v_lshrrev_b32_e32 v4, 5, v0                                // 000000002FF0: 20080085
	v_xor_b32_e32 v5, 1, v4                                    // 000000002FF4: 2A0A0881
	v_readlane_b32 s82, v3, 0                                  // 000000002FF8: D2890052 00010103
	s_and_b32 s82, s82, 0xffffff                               // 000000003000: 8652FF52 00FFFFFF
	v_mul_lo_u32 v6, v5, s82                                   // 000000003008: D2850006 0000A505
	v_readlane_b32 s82, v3, 1                                  // 000000003010: D2890052 00010303
	s_and_b32 s82, s82, 0xffffff                               // 000000003018: 8652FF52 00FFFFFF
	v_mul_lo_u32 v7, v4, s82                                   // 000000003020: D2850007 0000A504
	v_add_u32_e32 v40, v6, v7                                  // 000000003028: 68500F06
	v_mul_lo_u32 v40, v40, s68                                 // 00000000302C: D2850028 00008928
	v_readlane_b32 s82, v3, 2                                  // 000000003034: D2890052 00010503
	s_and_b32 s82, s82, 0xffffff                               // 00000000303C: 8652FF52 00FFFFFF
	v_mul_lo_u32 v6, v5, s82                                   // 000000003044: D2850006 0000A505
	v_readlane_b32 s82, v3, 3                                  // 00000000304C: D2890052 00010703
	s_and_b32 s82, s82, 0xffffff                               // 000000003054: 8652FF52 00FFFFFF
	v_mul_lo_u32 v7, v4, s82                                   // 00000000305C: D2850007 0000A504
	v_add_u32_e32 v41, v6, v7                                  // 000000003064: 68520F06
	v_mul_lo_u32 v41, v41, s68                                 // 000000003068: D2850029 00008929
	v_readlane_b32 s82, v3, 4                                  // 000000003070: D2890052 00010903
	s_and_b32 s82, s82, 0xffffff                               // 000000003078: 8652FF52 00FFFFFF
	v_mul_lo_u32 v6, v5, s82                                   // 000000003080: D2850006 0000A505
	v_readlane_b32 s82, v3, 5                                  // 000000003088: D2890052 00010B03
	s_and_b32 s82, s82, 0xffffff                               // 000000003090: 8652FF52 00FFFFFF
	v_mul_lo_u32 v7, v4, s82                                   // 000000003098: D2850007 0000A504
	v_add_u32_e32 v42, v6, v7                                  // 0000000030A0: 68540F06
	v_mul_lo_u32 v42, v42, s68                                 // 0000000030A4: D285002A 0000892A
	v_readlane_b32 s82, v3, 6                                  // 0000000030AC: D2890052 00010D03
	s_and_b32 s82, s82, 0xffffff                               // 0000000030B4: 8652FF52 00FFFFFF
	v_mul_lo_u32 v6, v5, s82                                   // 0000000030BC: D2850006 0000A505
	v_readlane_b32 s82, v3, 7                                  // 0000000030C4: D2890052 00010F03
	s_and_b32 s82, s82, 0xffffff                               // 0000000030CC: 8652FF52 00FFFFFF
	v_mul_lo_u32 v7, v4, s82                                   // 0000000030D4: D2850007 0000A504
	v_add_u32_e32 v43, v6, v7                                  // 0000000030DC: 68560F06
	v_mul_lo_u32 v43, v43, s68                                 // 0000000030E0: D285002B 0000892B
	v_readlane_b32 s82, v3, 8                                  // 0000000030E8: D2890052 00011103
	s_and_b32 s82, s82, 0xffffff                               // 0000000030F0: 8652FF52 00FFFFFF
	v_mul_lo_u32 v6, v5, s82                                   // 0000000030F8: D2850006 0000A505
	v_readlane_b32 s82, v3, 9                                  // 000000003100: D2890052 00011303
	s_and_b32 s82, s82, 0xffffff                               // 000000003108: 8652FF52 00FFFFFF
	v_mul_lo_u32 v7, v4, s82                                   // 000000003110: D2850007 0000A504
	v_add_u32_e32 v44, v6, v7                                  // 000000003118: 68580F06
	v_mul_lo_u32 v44, v44, s68                                 // 00000000311C: D285002C 0000892C
	v_readlane_b32 s82, v3, 10                                 // 000000003124: D2890052 00011503
	s_and_b32 s82, s82, 0xffffff                               // 00000000312C: 8652FF52 00FFFFFF
	v_mul_lo_u32 v6, v5, s82                                   // 000000003134: D2850006 0000A505
	v_readlane_b32 s82, v3, 11                                 // 00000000313C: D2890052 00011703
	s_and_b32 s82, s82, 0xffffff                               // 000000003144: 8652FF52 00FFFFFF
	v_mul_lo_u32 v7, v4, s82                                   // 00000000314C: D2850007 0000A504
	v_add_u32_e32 v45, v6, v7                                  // 000000003154: 685A0F06
	v_mul_lo_u32 v45, v45, s68                                 // 000000003158: D285002D 0000892D
	v_and_b32_e32 v4, 31, v0                                   // 000000003160: 2608009F
	v_lshlrev_b32_e32 v4, 2, v4                                // 000000003164: 24080882
	v_add_u32_e32 v40, v40, v4                                 // 000000003168: 68500928
	v_add_u32_e32 v41, v41, v4                                 // 00000000316C: 68520929
	v_add_u32_e32 v42, v42, v4                                 // 000000003170: 6854092A
	v_add_u32_e32 v43, v43, v4                                 // 000000003174: 6856092B
	v_add_u32_e32 v44, v44, v4                                 // 000000003178: 6858092C
	v_add_u32_e32 v45, v45, v4                                 // 00000000317C: 685A092D
	v_and_b32_e32 v28, 0xffffff, v28                           // 000000003180: 263838FF 00FFFFFF
	v_lshlrev_b32_e32 v28, 2, v28                              // 000000003188: 24383882
	v_and_b32_e32 v29, 0xffffff, v29                           // 00000000318C: 263A3AFF 00FFFFFF
	v_lshlrev_b32_e32 v29, 2, v29                              // 000000003194: 243A3A82
	v_and_b32_e32 v30, 0xffffff, v30                           // 000000003198: 263C3CFF 00FFFFFF
	v_lshlrev_b32_e32 v30, 2, v30                              // 0000000031A0: 243C3C82
	s_lshl_b32 s3, s66, 2                                      // 0000000031A4: 8E038242
	buffer_load_dword v31, v28, s[28:31], 0 offen              // 0000000031A8: E0501000 80071F1C
	buffer_load_dword v32, v29, s[28:31], 0 offen              // 0000000031B0: E0501000 8007201D
	buffer_load_dword v33, v30, s[28:31], 0 offen              // 0000000031B8: E0501000 8007211E
	buffer_load_dword v24, v22, s[32:35], 0 offen              // 0000000031C0: E0501000 80081816
	s_mul_i32 s60, 4, s65                                      // 0000000031C8: 923C4184
	s_add_u32 s32, s60, s32                                    // 0000000031CC: 8020203C
	s_addc_u32 s33, 0, s33                                     // 0000000031D0: 82212180
	buffer_load_dword v26, v22, s[32:35], 0 offen              // 0000000031D4: E0501000 80081A16
	buffer_load_dword v40, s[20:23], 0 offen lds               // 0000000031DC: E0511000 80050028
	s_add_u32 m0, 0x100, s48                                   // 0000000031E4: 807C30FF 00000100
	buffer_load_dword v41, s[20:23], 0 offen lds               // 0000000031EC: E0511000 80050029
	s_add_u32 m0, 0x200, s48                                   // 0000000031F4: 807C30FF 00000200
	buffer_load_dword v42, s[20:23], 0 offen lds               // 0000000031FC: E0511000 8005002A
	s_add_u32 m0, 0x300, s48                                   // 000000003204: 807C30FF 00000300
	buffer_load_dword v43, s[20:23], 0 offen lds               // 00000000320C: E0511000 8005002B
	s_add_u32 m0, 0x400, s48                                   // 000000003214: 807C30FF 00000400
	buffer_load_dword v44, s[20:23], 0 offen lds               // 00000000321C: E0511000 8005002C
	s_add_u32 m0, 0x500, s48                                   // 000000003224: 807C30FF 00000500
	buffer_load_dword v45, s[20:23], 0 offen lds               // 00000000322C: E0511000 8005002D
	s_add_u32 m0, 0, s49                                       // 000000003234: 807C3180
	s_add_u32 s20, s57, s20                                    // 000000003238: 80141439
	s_addc_u32 s21, 0, s21                                     // 00000000323C: 82151580
	buffer_load_dword v40, s[20:23], 0 offen lds               // 000000003240: E0511000 80050028
	s_add_u32 m0, 0x100, s49                                   // 000000003248: 807C31FF 00000100
	buffer_load_dword v41, s[20:23], 0 offen lds               // 000000003250: E0511000 80050029
	s_add_u32 m0, 0x200, s49                                   // 000000003258: 807C31FF 00000200
	buffer_load_dword v42, s[20:23], 0 offen lds               // 000000003260: E0511000 8005002A
	s_add_u32 m0, 0x300, s49                                   // 000000003268: 807C31FF 00000300
	buffer_load_dword v43, s[20:23], 0 offen lds               // 000000003270: E0511000 8005002B
	s_add_u32 m0, 0x400, s49                                   // 000000003278: 807C31FF 00000400
	buffer_load_dword v44, s[20:23], 0 offen lds               // 000000003280: E0511000 8005002C
	s_add_u32 m0, 0x500, s49                                   // 000000003288: 807C31FF 00000500
	buffer_load_dword v45, s[20:23], 0 offen lds               // 000000003290: E0511000 8005002D
	s_add_u32 m0, 0, s48                                       // 000000003298: 807C3080
	s_add_u32 s20, s57, s20                                    // 00000000329C: 80141439
	s_addc_u32 s21, 0, s21                                     // 0000000032A0: 82151580
	buffer_load_dwordx4 a[48:51], v46, s[24:27], 0 offen       // 0000000032A4: E05C1000 8086302E
	buffer_load_dwordx4 a[52:55], v46, s[24:27], 0 offen offset:1024// 0000000032AC: E05C1400 8086342E
	buffer_load_dwordx4 a[56:59], v47, s[24:27], 0 offen       // 0000000032B4: E05C1000 8086382F
	buffer_load_dwordx4 a[60:63], v47, s[24:27], 0 offen offset:1024// 0000000032BC: E05C1400 80863C2F
	buffer_load_dwordx4 a[64:67], v48, s[24:27], 0 offen       // 0000000032C4: E05C1000 80864030
	buffer_load_dwordx4 a[68:71], v48, s[24:27], 0 offen offset:1024// 0000000032CC: E05C1400 80864430
	buffer_load_dwordx4 a[72:75], v49, s[24:27], 0 offen       // 0000000032D4: E05C1000 80864831
	buffer_load_dwordx4 a[76:79], v49, s[24:27], 0 offen offset:1024// 0000000032DC: E05C1400 80864C31
	s_add_u32 s24, s58, s24                                    // 0000000032E4: 8018183A
	s_addc_u32 s25, 0, s25                                     // 0000000032E8: 82191980
	s_waitcnt vmcnt(14)                                        // 0000000032EC: BF8C0F7E
	s_barrier                                                  // 0000000032F0: BF8A0000
	ds_read_b128 a[0:3], v2                                    // 0000000032F4: DBFE0000 00000002
	ds_read_b128 a[4:7], v2 offset:64                          // 0000000032FC: DBFE0040 04000002
	ds_read_b128 a[8:11], v2 offset:512                        // 000000003304: DBFE0200 08000002
	ds_read_b128 a[12:15], v2 offset:576                       // 00000000330C: DBFE0240 0C000002
	ds_read_b128 a[16:19], v2 offset:1024                      // 000000003314: DBFE0400 10000002
	ds_read_b128 a[20:23], v2 offset:1088                      // 00000000331C: DBFE0440 14000002
	s_cmp_lt_i32 s7, 2                                         // 000000003324: BF048207
	s_cbranch_scc0 label_104E                                  // 000000003328: BF840E00

000000000000332c <label_024B>:
	s_waitcnt vmcnt(6) lgkmcnt(0)                              // 00000000332C: BF8C0076
	s_barrier                                                  // 000000003330: BF8A0000
	v_mfma_i32_16x16x32_i8 v[52:55], a[48:49], a[0:1], v[52:55]// 000000003334: D3D70034 1CD20130
	v_mfma_i32_16x16x32_i8 v[52:55], a[50:51], a[2:3], v[52:55]// 00000000333C: D3D70034 1CD20532
	buffer_load_dwordx4 a[80:83], v46, s[84:87], 0 offen       // 000000003344: E05C1000 8095502E
	v_mfma_i32_16x16x32_i8 v[52:55], a[52:53], a[4:5], v[52:55]// 00000000334C: D3D70034 1CD20934
	v_mfma_i32_16x16x32_i8 v[52:55], a[54:55], a[6:7], v[52:55]// 000000003354: D3D70034 1CD20D36
	v_mfma_i32_16x16x32_i8 v[56:59], a[48:49], a[8:9], v[56:59]// 00000000335C: D3D70038 1CE21130
	v_mfma_i32_16x16x32_i8 v[56:59], a[50:51], a[10:11], v[56:59]// 000000003364: D3D70038 1CE21532
	buffer_load_dwordx4 a[84:87], v46, s[84:87], 0 offen offset:1024// 00000000336C: E05C1400 8095542E
	v_mfma_i32_16x16x32_i8 v[56:59], a[52:53], a[12:13], v[56:59]// 000000003374: D3D70038 1CE21934
	v_mfma_i32_16x16x32_i8 v[56:59], a[54:55], a[14:15], v[56:59]// 00000000337C: D3D70038 1CE21D36
	v_mfma_i32_16x16x32_i8 v[60:63], a[48:49], a[16:17], v[60:63]// 000000003384: D3D7003C 1CF22130
	v_mfma_i32_16x16x32_i8 v[60:63], a[50:51], a[18:19], v[60:63]// 00000000338C: D3D7003C 1CF22532
	buffer_load_dwordx4 a[88:91], v47, s[84:87], 0 offen       // 000000003394: E05C1000 8095582F
	v_mfma_i32_16x16x32_i8 v[60:63], a[52:53], a[20:21], v[60:63]// 00000000339C: D3D7003C 1CF22934
	v_mfma_i32_16x16x32_i8 v[60:63], a[54:55], a[22:23], v[60:63]// 0000000033A4: D3D7003C 1CF22D36
	s_waitcnt vmcnt(7)                                         // 0000000033AC: BF8C0F77
	v_mfma_i32_16x16x32_i8 v[64:67], a[56:57], a[0:1], v[64:67]// 0000000033B0: D3D70040 1D020138
	v_mfma_i32_16x16x32_i8 v[64:67], a[58:59], a[2:3], v[64:67]// 0000000033B8: D3D70040 1D02053A
	buffer_load_dwordx4 a[92:95], v47, s[84:87], 0 offen offset:1024// 0000000033C0: E05C1400 80955C2F
	v_mfma_i32_16x16x32_i8 v[64:67], a[60:61], a[4:5], v[64:67]// 0000000033C8: D3D70040 1D02093C
	v_mfma_i32_16x16x32_i8 v[64:67], a[62:63], a[6:7], v[64:67]// 0000000033D0: D3D70040 1D020D3E
	v_mfma_i32_16x16x32_i8 v[68:71], a[56:57], a[8:9], v[68:71]// 0000000033D8: D3D70044 1D121138
	v_mfma_i32_16x16x32_i8 v[68:71], a[58:59], a[10:11], v[68:71]// 0000000033E0: D3D70044 1D12153A
	buffer_load_dwordx4 a[96:99], v48, s[84:87], 0 offen       // 0000000033E8: E05C1000 80956030
	v_mfma_i32_16x16x32_i8 v[68:71], a[60:61], a[12:13], v[68:71]// 0000000033F0: D3D70044 1D12193C
	v_mfma_i32_16x16x32_i8 v[68:71], a[62:63], a[14:15], v[68:71]// 0000000033F8: D3D70044 1D121D3E
	v_mfma_i32_16x16x32_i8 v[72:75], a[56:57], a[16:17], v[72:75]// 000000003400: D3D70048 1D222138
	v_mfma_i32_16x16x32_i8 v[72:75], a[58:59], a[18:19], v[72:75]// 000000003408: D3D70048 1D22253A
	buffer_load_dwordx4 a[100:103], v48, s[84:87], 0 offen offset:1024// 000000003410: E05C1400 80956430
	v_mfma_i32_16x16x32_i8 v[72:75], a[60:61], a[20:21], v[72:75]// 000000003418: D3D70048 1D22293C
	v_mfma_i32_16x16x32_i8 v[72:75], a[62:63], a[22:23], v[72:75]// 000000003420: D3D70048 1D222D3E
	s_waitcnt vmcnt(8)                                         // 000000003428: BF8C0F78
	v_mfma_i32_16x16x32_i8 v[76:79], a[64:65], a[0:1], v[76:79]// 00000000342C: D3D7004C 1D320140
	v_mfma_i32_16x16x32_i8 v[76:79], a[66:67], a[2:3], v[76:79]// 000000003434: D3D7004C 1D320542
	buffer_load_dwordx4 a[104:107], v49, s[84:87], 0 offen     // 00000000343C: E05C1000 80956831
	v_mfma_i32_16x16x32_i8 v[76:79], a[68:69], a[4:5], v[76:79]// 000000003444: D3D7004C 1D320944
	v_mfma_i32_16x16x32_i8 v[76:79], a[70:71], a[6:7], v[76:79]// 00000000344C: D3D7004C 1D320D46
	v_mfma_i32_16x16x32_i8 v[80:83], a[64:65], a[8:9], v[80:83]// 000000003454: D3D70050 1D421140
	v_mfma_i32_16x16x32_i8 v[80:83], a[66:67], a[10:11], v[80:83]// 00000000345C: D3D70050 1D421542
	buffer_load_dwordx4 a[108:111], v49, s[84:87], 0 offen offset:1024// 000000003464: E05C1400 80956C31
	buffer_load_dword v40, s[20:23], 0 offen lds               // 00000000346C: E0511000 80050028
	s_add_u32 m0, 0x100, s48                                   // 000000003474: 807C30FF 00000100
	v_mfma_i32_16x16x32_i8 v[80:83], a[68:69], a[12:13], v[80:83]// 00000000347C: D3D70050 1D421944
	v_mfma_i32_16x16x32_i8 v[80:83], a[70:71], a[14:15], v[80:83]// 000000003484: D3D70050 1D421D46
	buffer_load_dword v41, s[20:23], 0 offen lds               // 00000000348C: E0511000 80050029
	s_add_u32 m0, 0x200, s48                                   // 000000003494: 807C30FF 00000200
	v_mfma_i32_16x16x32_i8 v[84:87], a[64:65], a[16:17], v[84:87]// 00000000349C: D3D70054 1D522140
	v_mfma_i32_16x16x32_i8 v[84:87], a[66:67], a[18:19], v[84:87]// 0000000034A4: D3D70054 1D522542
	buffer_load_dword v42, s[20:23], 0 offen lds               // 0000000034AC: E0511000 8005002A
	s_add_u32 m0, 0x300, s48                                   // 0000000034B4: 807C30FF 00000300
	v_mfma_i32_16x16x32_i8 v[84:87], a[68:69], a[20:21], v[84:87]// 0000000034BC: D3D70054 1D522944
	v_mfma_i32_16x16x32_i8 v[84:87], a[70:71], a[22:23], v[84:87]// 0000000034C4: D3D70054 1D522D46
	buffer_load_dword v43, s[20:23], 0 offen lds               // 0000000034CC: E0511000 8005002B
	s_add_u32 m0, 0x400, s48                                   // 0000000034D4: 807C30FF 00000400
	s_waitcnt vmcnt(12)                                        // 0000000034DC: BF8C0F7C
	v_mfma_i32_16x16x32_i8 v[88:91], a[72:73], a[0:1], v[88:91]// 0000000034E0: D3D70058 1D620148
	v_mfma_i32_16x16x32_i8 v[88:91], a[74:75], a[2:3], v[88:91]// 0000000034E8: D3D70058 1D62054A
	buffer_load_dword v44, s[20:23], 0 offen lds               // 0000000034F0: E0511000 8005002C
	s_add_u32 m0, 0x500, s48                                   // 0000000034F8: 807C30FF 00000500
	v_mfma_i32_16x16x32_i8 v[88:91], a[76:77], a[4:5], v[88:91]// 000000003500: D3D70058 1D62094C
	v_mfma_i32_16x16x32_i8 v[88:91], a[78:79], a[6:7], v[88:91]// 000000003508: D3D70058 1D620D4E
	buffer_load_dword v45, s[20:23], 0 offen lds               // 000000003510: E0511000 8005002D
	s_add_u32 m0, 0, s49                                       // 000000003518: 807C3180
	v_mfma_i32_16x16x32_i8 v[92:95], a[72:73], a[8:9], v[92:95]// 00000000351C: D3D7005C 1D721148
	v_mfma_i32_16x16x32_i8 v[92:95], a[74:75], a[10:11], v[92:95]// 000000003524: D3D7005C 1D72154A
	v_mfma_i32_16x16x32_i8 v[92:95], a[76:77], a[12:13], v[92:95]// 00000000352C: D3D7005C 1D72194C
	v_mfma_i32_16x16x32_i8 v[92:95], a[78:79], a[14:15], v[92:95]// 000000003534: D3D7005C 1D721D4E
	v_mfma_i32_16x16x32_i8 v[96:99], a[72:73], a[16:17], v[96:99]// 00000000353C: D3D70060 1D822148
	v_mfma_i32_16x16x32_i8 v[96:99], a[74:75], a[18:19], v[96:99]// 000000003544: D3D70060 1D82254A
	s_add_u32 s60, 0x80, s80                                   // 00000000354C: 803C50FF 00000080
	s_cmp_lt_u32 s60, s81                                      // 000000003554: BF0A513C
	s_cselect_b32 s83, s83, 0                                  // 000000003558: 85538053
	v_mfma_i32_16x16x32_i8 v[96:99], a[76:77], a[20:21], v[96:99]// 00000000355C: D3D70060 1D82294C
	v_mfma_i32_16x16x32_i8 v[96:99], a[78:79], a[22:23], v[96:99]// 000000003564: D3D70060 1D822D4E
	s_waitcnt vmcnt(6)                                         // 00000000356C: BF8C0F76
	v_mfma_i32_16x16x32_i8 v[100:103], a[80:81], a[0:1], v[100:103]// 000000003570: D3D70064 1D920150
	v_mfma_i32_16x16x32_i8 v[100:103], a[82:83], a[2:3], v[100:103]// 000000003578: D3D70064 1D920552
	buffer_load_dwordx4 a[48:51], v46, s[24:27], 0 offen       // 000000003580: E05C1000 8086302E
	v_mfma_i32_16x16x32_i8 v[100:103], a[84:85], a[4:5], v[100:103]// 000000003588: D3D70064 1D920954
	v_mfma_i32_16x16x32_i8 v[100:103], a[86:87], a[6:7], v[100:103]// 000000003590: D3D70064 1D920D56
	ds_read_b128 a[24:27], v2 offset:6272                      // 000000003598: DBFE1880 18000002
	ds_read_b128 a[28:31], v2 offset:6336                      // 0000000035A0: DBFE18C0 1C000002
	v_mfma_i32_16x16x32_i8 v[112:115], a[88:89], a[0:1], v[112:115]// 0000000035A8: D3D70070 1DC20158
	v_mfma_i32_16x16x32_i8 v[112:115], a[90:91], a[2:3], v[112:115]// 0000000035B0: D3D70070 1DC2055A
	buffer_load_dwordx4 a[52:55], v46, s[24:27], 0 offen offset:1024// 0000000035B8: E05C1400 8086342E
	v_mfma_i32_16x16x32_i8 v[112:115], a[92:93], a[4:5], v[112:115]// 0000000035C0: D3D70070 1DC2095C
	v_mfma_i32_16x16x32_i8 v[112:115], a[94:95], a[6:7], v[112:115]// 0000000035C8: D3D70070 1DC20D5E
	ds_read_b128 a[32:35], v2 offset:6784                      // 0000000035D0: DBFE1A80 20000002
	ds_read_b128 a[36:39], v2 offset:6848                      // 0000000035D8: DBFE1AC0 24000002
	v_mfma_i32_16x16x32_i8 v[124:127], a[96:97], a[0:1], v[124:127]// 0000000035E0: D3D7007C 1DF20160
	v_mfma_i32_16x16x32_i8 v[124:127], a[98:99], a[2:3], v[124:127]// 0000000035E8: D3D7007C 1DF20562
	buffer_load_dwordx4 a[56:59], v47, s[24:27], 0 offen       // 0000000035F0: E05C1000 8086382F
	v_mfma_i32_16x16x32_i8 v[124:127], a[100:101], a[4:5], v[124:127]// 0000000035F8: D3D7007C 1DF20964
	v_mfma_i32_16x16x32_i8 v[124:127], a[102:103], a[6:7], v[124:127]// 000000003600: D3D7007C 1DF20D66
	ds_read_b128 a[40:43], v2 offset:7296                      // 000000003608: DBFE1C80 28000002
	ds_read_b128 a[44:47], v2 offset:7360                      // 000000003610: DBFE1CC0 2C000002
	v_mfma_i32_16x16x32_i8 v[136:139], a[104:105], a[0:1], v[136:139]// 000000003618: D3D70088 1E220168
	v_mfma_i32_16x16x32_i8 v[136:139], a[106:107], a[2:3], v[136:139]// 000000003620: D3D70088 1E22056A
	buffer_load_dwordx4 a[60:63], v47, s[24:27], 0 offen offset:1024// 000000003628: E05C1400 80863C2F
	v_mfma_i32_16x16x32_i8 v[136:139], a[108:109], a[4:5], v[136:139]// 000000003630: D3D70088 1E22096C
	v_mfma_i32_16x16x32_i8 v[136:139], a[110:111], a[6:7], v[136:139]// 000000003638: D3D70088 1E220D6E
	v_mfma_i32_16x16x32_i8 v[104:107], a[80:81], a[8:9], v[104:107]// 000000003640: D3D70068 1DA21150
	v_mfma_i32_16x16x32_i8 v[104:107], a[82:83], a[10:11], v[104:107]// 000000003648: D3D70068 1DA21552
	buffer_load_dwordx4 a[64:67], v48, s[24:27], 0 offen       // 000000003650: E05C1000 80864030
	v_mfma_i32_16x16x32_i8 v[104:107], a[84:85], a[12:13], v[104:107]// 000000003658: D3D70068 1DA21954
	v_mfma_i32_16x16x32_i8 v[104:107], a[86:87], a[14:15], v[104:107]// 000000003660: D3D70068 1DA21D56
	v_mfma_i32_16x16x32_i8 v[116:119], a[88:89], a[8:9], v[116:119]// 000000003668: D3D70074 1DD21158
	v_mfma_i32_16x16x32_i8 v[116:119], a[90:91], a[10:11], v[116:119]// 000000003670: D3D70074 1DD2155A
	buffer_load_dwordx4 a[68:71], v48, s[24:27], 0 offen offset:1024// 000000003678: E05C1400 80864430
	v_mfma_i32_16x16x32_i8 v[116:119], a[92:93], a[12:13], v[116:119]// 000000003680: D3D70074 1DD2195C
	v_mfma_i32_16x16x32_i8 v[116:119], a[94:95], a[14:15], v[116:119]// 000000003688: D3D70074 1DD21D5E
	v_mfma_i32_16x16x32_i8 v[128:131], a[96:97], a[8:9], v[128:131]// 000000003690: D3D70080 1E021160
	v_mfma_i32_16x16x32_i8 v[128:131], a[98:99], a[10:11], v[128:131]// 000000003698: D3D70080 1E021562
	buffer_load_dwordx4 a[72:75], v49, s[24:27], 0 offen       // 0000000036A0: E05C1000 80864831
	v_mfma_i32_16x16x32_i8 v[128:131], a[100:101], a[12:13], v[128:131]// 0000000036A8: D3D70080 1E021964
	v_mfma_i32_16x16x32_i8 v[128:131], a[102:103], a[14:15], v[128:131]// 0000000036B0: D3D70080 1E021D66
	v_mfma_i32_16x16x32_i8 v[140:143], a[104:105], a[8:9], v[140:143]// 0000000036B8: D3D7008C 1E321168
	v_mfma_i32_16x16x32_i8 v[140:143], a[106:107], a[10:11], v[140:143]// 0000000036C0: D3D7008C 1E32156A
	buffer_load_dwordx4 a[76:79], v49, s[24:27], 0 offen offset:1024// 0000000036C8: E05C1400 80864C31
	v_mfma_i32_16x16x32_i8 v[140:143], a[108:109], a[12:13], v[140:143]// 0000000036D0: D3D7008C 1E32196C
	v_mfma_i32_16x16x32_i8 v[140:143], a[110:111], a[14:15], v[140:143]// 0000000036D8: D3D7008C 1E321D6E
	v_mfma_i32_16x16x32_i8 v[108:111], a[80:81], a[16:17], v[108:111]// 0000000036E0: D3D7006C 1DB22150
	v_mfma_i32_16x16x32_i8 v[108:111], a[82:83], a[18:19], v[108:111]// 0000000036E8: D3D7006C 1DB22552
	v_mfma_i32_16x16x32_i8 v[108:111], a[84:85], a[20:21], v[108:111]// 0000000036F0: D3D7006C 1DB22954
	v_mfma_i32_16x16x32_i8 v[108:111], a[86:87], a[22:23], v[108:111]// 0000000036F8: D3D7006C 1DB22D56
	v_mfma_i32_16x16x32_i8 v[120:123], a[88:89], a[16:17], v[120:123]// 000000003700: D3D70078 1DE22158
	v_mfma_i32_16x16x32_i8 v[120:123], a[90:91], a[18:19], v[120:123]// 000000003708: D3D70078 1DE2255A
	v_mfma_i32_16x16x32_i8 v[120:123], a[92:93], a[20:21], v[120:123]// 000000003710: D3D70078 1DE2295C
	v_mfma_i32_16x16x32_i8 v[120:123], a[94:95], a[22:23], v[120:123]// 000000003718: D3D70078 1DE22D5E
	v_mfma_i32_16x16x32_i8 v[132:135], a[96:97], a[16:17], v[132:135]// 000000003720: D3D70084 1E122160
	v_mfma_i32_16x16x32_i8 v[132:135], a[98:99], a[18:19], v[132:135]// 000000003728: D3D70084 1E122562
	v_mfma_i32_16x16x32_i8 v[132:135], a[100:101], a[20:21], v[132:135]// 000000003730: D3D70084 1E122964
	s_add_u32 s60, 0x180, s80                                  // 000000003738: 803C50FF 00000180
	s_cmp_lt_u32 s60, s81                                      // 000000003740: BF0A513C
	s_cselect_b32 s57, s57, 0                                  // 000000003744: 85398039
	v_mfma_i32_16x16x32_i8 v[132:135], a[102:103], a[22:23], v[132:135]// 000000003748: D3D70084 1E122D66
	s_add_u32 s60, 0x100, s80                                  // 000000003750: 803C50FF 00000100
	s_cmp_lt_u32 s60, s81                                      // 000000003758: BF0A513C
	s_cselect_b32 s58, s58, 0                                  // 00000000375C: 853A803A
	v_mfma_i32_16x16x32_i8 v[144:147], a[104:105], a[16:17], v[144:147]// 000000003760: D3D70090 1E422168
	s_add_u32 s24, s58, s24                                    // 000000003768: 8018183A
	s_addc_u32 s25, 0, s25                                     // 00000000376C: 82191980
	v_mfma_i32_16x16x32_i8 v[144:147], a[106:107], a[18:19], v[144:147]// 000000003770: D3D70090 1E42256A
	s_add_u32 s20, s57, s20                                    // 000000003778: 80141439
	s_addc_u32 s21, 0, s21                                     // 00000000377C: 82151580
	v_mfma_i32_16x16x32_i8 v[144:147], a[108:109], a[20:21], v[144:147]// 000000003780: D3D70090 1E42296C
	s_add_u32 s84, s83, s84                                    // 000000003788: 80545453
	s_addc_u32 s85, 0, s85                                     // 00000000378C: 82555580
	v_mfma_i32_16x16x32_i8 v[144:147], a[110:111], a[22:23], v[144:147]// 000000003790: D3D70090 1E422D6E
	s_addk_i32 s80, 0x80                                       // 000000003798: B7500080
	s_cmp_lt_i32 s80, s81                                      // 00000000379C: BF045150
	s_cbranch_scc0 label_0488                                  // 0000000037A0: BF84011F
	s_waitcnt vmcnt(6) lgkmcnt(0)                              // 0000000037A4: BF8C0076
	s_barrier                                                  // 0000000037A8: BF8A0000
	v_mfma_i32_16x16x32_i8 v[52:55], a[48:49], a[24:25], v[52:55]// 0000000037AC: D3D70034 1CD23130
	v_mfma_i32_16x16x32_i8 v[52:55], a[50:51], a[26:27], v[52:55]// 0000000037B4: D3D70034 1CD23532
	buffer_load_dwordx4 a[80:83], v46, s[84:87], 0 offen       // 0000000037BC: E05C1000 8095502E
	v_mfma_i32_16x16x32_i8 v[52:55], a[52:53], a[28:29], v[52:55]// 0000000037C4: D3D70034 1CD23934
	v_mfma_i32_16x16x32_i8 v[52:55], a[54:55], a[30:31], v[52:55]// 0000000037CC: D3D70034 1CD23D36
	v_mfma_i32_16x16x32_i8 v[56:59], a[48:49], a[32:33], v[56:59]// 0000000037D4: D3D70038 1CE24130
	v_mfma_i32_16x16x32_i8 v[56:59], a[50:51], a[34:35], v[56:59]// 0000000037DC: D3D70038 1CE24532
	buffer_load_dwordx4 a[84:87], v46, s[84:87], 0 offen offset:1024// 0000000037E4: E05C1400 8095542E
	v_mfma_i32_16x16x32_i8 v[56:59], a[52:53], a[36:37], v[56:59]// 0000000037EC: D3D70038 1CE24934
	v_mfma_i32_16x16x32_i8 v[56:59], a[54:55], a[38:39], v[56:59]// 0000000037F4: D3D70038 1CE24D36
	v_mfma_i32_16x16x32_i8 v[60:63], a[48:49], a[40:41], v[60:63]// 0000000037FC: D3D7003C 1CF25130
	v_mfma_i32_16x16x32_i8 v[60:63], a[50:51], a[42:43], v[60:63]// 000000003804: D3D7003C 1CF25532
	buffer_load_dwordx4 a[88:91], v47, s[84:87], 0 offen       // 00000000380C: E05C1000 8095582F
	v_mfma_i32_16x16x32_i8 v[60:63], a[52:53], a[44:45], v[60:63]// 000000003814: D3D7003C 1CF25934
	v_mfma_i32_16x16x32_i8 v[60:63], a[54:55], a[46:47], v[60:63]// 00000000381C: D3D7003C 1CF25D36
	s_waitcnt vmcnt(7)                                         // 000000003824: BF8C0F77
	v_mfma_i32_16x16x32_i8 v[64:67], a[56:57], a[24:25], v[64:67]// 000000003828: D3D70040 1D023138
	v_mfma_i32_16x16x32_i8 v[64:67], a[58:59], a[26:27], v[64:67]// 000000003830: D3D70040 1D02353A
	buffer_load_dwordx4 a[92:95], v47, s[84:87], 0 offen offset:1024// 000000003838: E05C1400 80955C2F
	v_mfma_i32_16x16x32_i8 v[64:67], a[60:61], a[28:29], v[64:67]// 000000003840: D3D70040 1D02393C
	v_mfma_i32_16x16x32_i8 v[64:67], a[62:63], a[30:31], v[64:67]// 000000003848: D3D70040 1D023D3E
	v_mfma_i32_16x16x32_i8 v[68:71], a[56:57], a[32:33], v[68:71]// 000000003850: D3D70044 1D124138
	v_mfma_i32_16x16x32_i8 v[68:71], a[58:59], a[34:35], v[68:71]// 000000003858: D3D70044 1D12453A
	buffer_load_dwordx4 a[96:99], v48, s[84:87], 0 offen       // 000000003860: E05C1000 80956030
	v_mfma_i32_16x16x32_i8 v[68:71], a[60:61], a[36:37], v[68:71]// 000000003868: D3D70044 1D12493C
	v_mfma_i32_16x16x32_i8 v[68:71], a[62:63], a[38:39], v[68:71]// 000000003870: D3D70044 1D124D3E
	v_mfma_i32_16x16x32_i8 v[72:75], a[56:57], a[40:41], v[72:75]// 000000003878: D3D70048 1D225138
	v_mfma_i32_16x16x32_i8 v[72:75], a[58:59], a[42:43], v[72:75]// 000000003880: D3D70048 1D22553A
	buffer_load_dwordx4 a[100:103], v48, s[84:87], 0 offen offset:1024// 000000003888: E05C1400 80956430
	v_mfma_i32_16x16x32_i8 v[72:75], a[60:61], a[44:45], v[72:75]// 000000003890: D3D70048 1D22593C
	v_mfma_i32_16x16x32_i8 v[72:75], a[62:63], a[46:47], v[72:75]// 000000003898: D3D70048 1D225D3E
	s_waitcnt vmcnt(8)                                         // 0000000038A0: BF8C0F78
	v_mfma_i32_16x16x32_i8 v[76:79], a[64:65], a[24:25], v[76:79]// 0000000038A4: D3D7004C 1D323140
	v_mfma_i32_16x16x32_i8 v[76:79], a[66:67], a[26:27], v[76:79]// 0000000038AC: D3D7004C 1D323542
	buffer_load_dwordx4 a[104:107], v49, s[84:87], 0 offen     // 0000000038B4: E05C1000 80956831
	v_mfma_i32_16x16x32_i8 v[76:79], a[68:69], a[28:29], v[76:79]// 0000000038BC: D3D7004C 1D323944
	v_mfma_i32_16x16x32_i8 v[76:79], a[70:71], a[30:31], v[76:79]// 0000000038C4: D3D7004C 1D323D46
	v_mfma_i32_16x16x32_i8 v[80:83], a[64:65], a[32:33], v[80:83]// 0000000038CC: D3D70050 1D424140
	v_mfma_i32_16x16x32_i8 v[80:83], a[66:67], a[34:35], v[80:83]// 0000000038D4: D3D70050 1D424542
	buffer_load_dwordx4 a[108:111], v49, s[84:87], 0 offen offset:1024// 0000000038DC: E05C1400 80956C31
	buffer_load_dword v40, s[20:23], 0 offen lds               // 0000000038E4: E0511000 80050028
	s_add_u32 m0, 0x100, s49                                   // 0000000038EC: 807C31FF 00000100
	v_mfma_i32_16x16x32_i8 v[80:83], a[68:69], a[36:37], v[80:83]// 0000000038F4: D3D70050 1D424944
	v_mfma_i32_16x16x32_i8 v[80:83], a[70:71], a[38:39], v[80:83]// 0000000038FC: D3D70050 1D424D46
	buffer_load_dword v41, s[20:23], 0 offen lds               // 000000003904: E0511000 80050029
	s_add_u32 m0, 0x200, s49                                   // 00000000390C: 807C31FF 00000200
	v_mfma_i32_16x16x32_i8 v[84:87], a[64:65], a[40:41], v[84:87]// 000000003914: D3D70054 1D525140
	v_mfma_i32_16x16x32_i8 v[84:87], a[66:67], a[42:43], v[84:87]// 00000000391C: D3D70054 1D525542
	buffer_load_dword v42, s[20:23], 0 offen lds               // 000000003924: E0511000 8005002A
	s_add_u32 m0, 0x300, s49                                   // 00000000392C: 807C31FF 00000300
	v_mfma_i32_16x16x32_i8 v[84:87], a[68:69], a[44:45], v[84:87]// 000000003934: D3D70054 1D525944
	v_mfma_i32_16x16x32_i8 v[84:87], a[70:71], a[46:47], v[84:87]// 00000000393C: D3D70054 1D525D46
	buffer_load_dword v43, s[20:23], 0 offen lds               // 000000003944: E0511000 8005002B
	s_add_u32 m0, 0x400, s49                                   // 00000000394C: 807C31FF 00000400
	s_waitcnt vmcnt(12)                                        // 000000003954: BF8C0F7C
	v_mfma_i32_16x16x32_i8 v[88:91], a[72:73], a[24:25], v[88:91]// 000000003958: D3D70058 1D623148
	v_mfma_i32_16x16x32_i8 v[88:91], a[74:75], a[26:27], v[88:91]// 000000003960: D3D70058 1D62354A
	buffer_load_dword v44, s[20:23], 0 offen lds               // 000000003968: E0511000 8005002C
	s_add_u32 m0, 0x500, s49                                   // 000000003970: 807C31FF 00000500
	v_mfma_i32_16x16x32_i8 v[88:91], a[76:77], a[28:29], v[88:91]// 000000003978: D3D70058 1D62394C
	v_mfma_i32_16x16x32_i8 v[88:91], a[78:79], a[30:31], v[88:91]// 000000003980: D3D70058 1D623D4E
	buffer_load_dword v45, s[20:23], 0 offen lds               // 000000003988: E0511000 8005002D
	s_add_u32 m0, 0, s48                                       // 000000003990: 807C3080
	v_mfma_i32_16x16x32_i8 v[92:95], a[72:73], a[32:33], v[92:95]// 000000003994: D3D7005C 1D724148
	v_mfma_i32_16x16x32_i8 v[92:95], a[74:75], a[34:35], v[92:95]// 00000000399C: D3D7005C 1D72454A
	v_mfma_i32_16x16x32_i8 v[92:95], a[76:77], a[36:37], v[92:95]// 0000000039A4: D3D7005C 1D72494C
	v_mfma_i32_16x16x32_i8 v[92:95], a[78:79], a[38:39], v[92:95]// 0000000039AC: D3D7005C 1D724D4E
	v_mfma_i32_16x16x32_i8 v[96:99], a[72:73], a[40:41], v[96:99]// 0000000039B4: D3D70060 1D825148
	v_mfma_i32_16x16x32_i8 v[96:99], a[74:75], a[42:43], v[96:99]// 0000000039BC: D3D70060 1D82554A
	s_add_u32 s60, 0x80, s80                                   // 0000000039C4: 803C50FF 00000080
	s_cmp_lt_u32 s60, s81                                      // 0000000039CC: BF0A513C
	s_cselect_b32 s83, s83, 0                                  // 0000000039D0: 85538053
	v_mfma_i32_16x16x32_i8 v[96:99], a[76:77], a[44:45], v[96:99]// 0000000039D4: D3D70060 1D82594C
	v_mfma_i32_16x16x32_i8 v[96:99], a[78:79], a[46:47], v[96:99]// 0000000039DC: D3D70060 1D825D4E
	s_waitcnt vmcnt(6)                                         // 0000000039E4: BF8C0F76
	v_mfma_i32_16x16x32_i8 v[100:103], a[80:81], a[24:25], v[100:103]// 0000000039E8: D3D70064 1D923150
	v_mfma_i32_16x16x32_i8 v[100:103], a[82:83], a[26:27], v[100:103]// 0000000039F0: D3D70064 1D923552
	buffer_load_dwordx4 a[48:51], v46, s[24:27], 0 offen       // 0000000039F8: E05C1000 8086302E
	v_mfma_i32_16x16x32_i8 v[100:103], a[84:85], a[28:29], v[100:103]// 000000003A00: D3D70064 1D923954
	v_mfma_i32_16x16x32_i8 v[100:103], a[86:87], a[30:31], v[100:103]// 000000003A08: D3D70064 1D923D56
	ds_read_b128 a[0:3], v2                                    // 000000003A10: DBFE0000 00000002
	ds_read_b128 a[4:7], v2 offset:64                          // 000000003A18: DBFE0040 04000002
	v_mfma_i32_16x16x32_i8 v[112:115], a[88:89], a[24:25], v[112:115]// 000000003A20: D3D70070 1DC23158
	v_mfma_i32_16x16x32_i8 v[112:115], a[90:91], a[26:27], v[112:115]// 000000003A28: D3D70070 1DC2355A
	buffer_load_dwordx4 a[52:55], v46, s[24:27], 0 offen offset:1024// 000000003A30: E05C1400 8086342E
	v_mfma_i32_16x16x32_i8 v[112:115], a[92:93], a[28:29], v[112:115]// 000000003A38: D3D70070 1DC2395C
	v_mfma_i32_16x16x32_i8 v[112:115], a[94:95], a[30:31], v[112:115]// 000000003A40: D3D70070 1DC23D5E
	ds_read_b128 a[8:11], v2 offset:512                        // 000000003A48: DBFE0200 08000002
	ds_read_b128 a[12:15], v2 offset:576                       // 000000003A50: DBFE0240 0C000002
	v_mfma_i32_16x16x32_i8 v[124:127], a[96:97], a[24:25], v[124:127]// 000000003A58: D3D7007C 1DF23160
	v_mfma_i32_16x16x32_i8 v[124:127], a[98:99], a[26:27], v[124:127]// 000000003A60: D3D7007C 1DF23562
	buffer_load_dwordx4 a[56:59], v47, s[24:27], 0 offen       // 000000003A68: E05C1000 8086382F
	v_mfma_i32_16x16x32_i8 v[124:127], a[100:101], a[28:29], v[124:127]// 000000003A70: D3D7007C 1DF23964
	v_mfma_i32_16x16x32_i8 v[124:127], a[102:103], a[30:31], v[124:127]// 000000003A78: D3D7007C 1DF23D66
	ds_read_b128 a[16:19], v2 offset:1024                      // 000000003A80: DBFE0400 10000002
	ds_read_b128 a[20:23], v2 offset:1088                      // 000000003A88: DBFE0440 14000002
	v_mfma_i32_16x16x32_i8 v[136:139], a[104:105], a[24:25], v[136:139]// 000000003A90: D3D70088 1E223168
	v_mfma_i32_16x16x32_i8 v[136:139], a[106:107], a[26:27], v[136:139]// 000000003A98: D3D70088 1E22356A
	buffer_load_dwordx4 a[60:63], v47, s[24:27], 0 offen offset:1024// 000000003AA0: E05C1400 80863C2F
	v_mfma_i32_16x16x32_i8 v[136:139], a[108:109], a[28:29], v[136:139]// 000000003AA8: D3D70088 1E22396C
	v_mfma_i32_16x16x32_i8 v[136:139], a[110:111], a[30:31], v[136:139]// 000000003AB0: D3D70088 1E223D6E
	v_mfma_i32_16x16x32_i8 v[104:107], a[80:81], a[32:33], v[104:107]// 000000003AB8: D3D70068 1DA24150
	v_mfma_i32_16x16x32_i8 v[104:107], a[82:83], a[34:35], v[104:107]// 000000003AC0: D3D70068 1DA24552
	buffer_load_dwordx4 a[64:67], v48, s[24:27], 0 offen       // 000000003AC8: E05C1000 80864030
	v_mfma_i32_16x16x32_i8 v[104:107], a[84:85], a[36:37], v[104:107]// 000000003AD0: D3D70068 1DA24954
	v_mfma_i32_16x16x32_i8 v[104:107], a[86:87], a[38:39], v[104:107]// 000000003AD8: D3D70068 1DA24D56
	v_mfma_i32_16x16x32_i8 v[116:119], a[88:89], a[32:33], v[116:119]// 000000003AE0: D3D70074 1DD24158
	v_mfma_i32_16x16x32_i8 v[116:119], a[90:91], a[34:35], v[116:119]// 000000003AE8: D3D70074 1DD2455A
	buffer_load_dwordx4 a[68:71], v48, s[24:27], 0 offen offset:1024// 000000003AF0: E05C1400 80864430
	v_mfma_i32_16x16x32_i8 v[116:119], a[92:93], a[36:37], v[116:119]// 000000003AF8: D3D70074 1DD2495C
	v_mfma_i32_16x16x32_i8 v[116:119], a[94:95], a[38:39], v[116:119]// 000000003B00: D3D70074 1DD24D5E
	v_mfma_i32_16x16x32_i8 v[128:131], a[96:97], a[32:33], v[128:131]// 000000003B08: D3D70080 1E024160
	v_mfma_i32_16x16x32_i8 v[128:131], a[98:99], a[34:35], v[128:131]// 000000003B10: D3D70080 1E024562
	buffer_load_dwordx4 a[72:75], v49, s[24:27], 0 offen       // 000000003B18: E05C1000 80864831
	v_mfma_i32_16x16x32_i8 v[128:131], a[100:101], a[36:37], v[128:131]// 000000003B20: D3D70080 1E024964
	v_mfma_i32_16x16x32_i8 v[128:131], a[102:103], a[38:39], v[128:131]// 000000003B28: D3D70080 1E024D66
	v_mfma_i32_16x16x32_i8 v[140:143], a[104:105], a[32:33], v[140:143]// 000000003B30: D3D7008C 1E324168
	v_mfma_i32_16x16x32_i8 v[140:143], a[106:107], a[34:35], v[140:143]// 000000003B38: D3D7008C 1E32456A
	buffer_load_dwordx4 a[76:79], v49, s[24:27], 0 offen offset:1024// 000000003B40: E05C1400 80864C31
	v_mfma_i32_16x16x32_i8 v[140:143], a[108:109], a[36:37], v[140:143]// 000000003B48: D3D7008C 1E32496C
	v_mfma_i32_16x16x32_i8 v[140:143], a[110:111], a[38:39], v[140:143]// 000000003B50: D3D7008C 1E324D6E
	v_mfma_i32_16x16x32_i8 v[108:111], a[80:81], a[40:41], v[108:111]// 000000003B58: D3D7006C 1DB25150
	v_mfma_i32_16x16x32_i8 v[108:111], a[82:83], a[42:43], v[108:111]// 000000003B60: D3D7006C 1DB25552
	v_mfma_i32_16x16x32_i8 v[108:111], a[84:85], a[44:45], v[108:111]// 000000003B68: D3D7006C 1DB25954
	v_mfma_i32_16x16x32_i8 v[108:111], a[86:87], a[46:47], v[108:111]// 000000003B70: D3D7006C 1DB25D56
	v_mfma_i32_16x16x32_i8 v[120:123], a[88:89], a[40:41], v[120:123]// 000000003B78: D3D70078 1DE25158
	v_mfma_i32_16x16x32_i8 v[120:123], a[90:91], a[42:43], v[120:123]// 000000003B80: D3D70078 1DE2555A
	v_mfma_i32_16x16x32_i8 v[120:123], a[92:93], a[44:45], v[120:123]// 000000003B88: D3D70078 1DE2595C
	v_mfma_i32_16x16x32_i8 v[120:123], a[94:95], a[46:47], v[120:123]// 000000003B90: D3D70078 1DE25D5E
	v_mfma_i32_16x16x32_i8 v[132:135], a[96:97], a[40:41], v[132:135]// 000000003B98: D3D70084 1E125160
	v_mfma_i32_16x16x32_i8 v[132:135], a[98:99], a[42:43], v[132:135]// 000000003BA0: D3D70084 1E125562
	v_mfma_i32_16x16x32_i8 v[132:135], a[100:101], a[44:45], v[132:135]// 000000003BA8: D3D70084 1E125964
	s_add_u32 s60, 0x180, s80                                  // 000000003BB0: 803C50FF 00000180
	s_cmp_lt_u32 s60, s81                                      // 000000003BB8: BF0A513C
	s_cselect_b32 s57, s57, 0                                  // 000000003BBC: 85398039
	v_mfma_i32_16x16x32_i8 v[132:135], a[102:103], a[46:47], v[132:135]// 000000003BC0: D3D70084 1E125D66
	s_add_u32 s60, 0x100, s80                                  // 000000003BC8: 803C50FF 00000100
	s_cmp_lt_u32 s60, s81                                      // 000000003BD0: BF0A513C
	s_cselect_b32 s58, s58, 0                                  // 000000003BD4: 853A803A
	v_mfma_i32_16x16x32_i8 v[144:147], a[104:105], a[40:41], v[144:147]// 000000003BD8: D3D70090 1E425168
	s_add_u32 s24, s58, s24                                    // 000000003BE0: 8018183A
	s_addc_u32 s25, 0, s25                                     // 000000003BE4: 82191980
	v_mfma_i32_16x16x32_i8 v[144:147], a[106:107], a[42:43], v[144:147]// 000000003BE8: D3D70090 1E42556A
	s_add_u32 s20, s57, s20                                    // 000000003BF0: 80141439
	s_addc_u32 s21, 0, s21                                     // 000000003BF4: 82151580
	v_mfma_i32_16x16x32_i8 v[144:147], a[108:109], a[44:45], v[144:147]// 000000003BF8: D3D70090 1E42596C
	s_add_u32 s84, s83, s84                                    // 000000003C00: 80545453
	s_addc_u32 s85, 0, s85                                     // 000000003C04: 82555580
	v_mfma_i32_16x16x32_i8 v[144:147], a[110:111], a[46:47], v[144:147]// 000000003C08: D3D70090 1E425D6E
	s_addk_i32 s80, 0x80                                       // 000000003C10: B7500080
	s_cmp_lt_i32 s80, s81                                      // 000000003C14: BF045150
	s_cbranch_scc0 label_0488                                  // 000000003C18: BF840001
	s_branch label_024B                                        // 000000003C1C: BF82FDC3

0000000000003c20 <label_0488>:
	v_cvt_f32_i32_e32 v52, v52                                 // 000000003C20: 7E680B34
	v_cvt_f32_i32_e32 v53, v53                                 // 000000003C24: 7E6A0B35
	v_cvt_f32_i32_e32 v54, v54                                 // 000000003C28: 7E6C0B36
	v_cvt_f32_i32_e32 v55, v55                                 // 000000003C2C: 7E6E0B37
	v_mul_f32_dpp v52, v24, v52 row_newbcast:0 row_mask:0xf bank_mask:0xf// 000000003C30: 0A6868FA FF015018
	v_mul_f32_dpp v53, v24, v53 row_newbcast:1 row_mask:0xf bank_mask:0xf// 000000003C38: 0A6A6AFA FF015118
	v_mul_f32_dpp v54, v24, v54 row_newbcast:2 row_mask:0xf bank_mask:0xf// 000000003C40: 0A6C6CFA FF015218
	v_mul_f32_dpp v55, v24, v55 row_newbcast:3 row_mask:0xf bank_mask:0xf// 000000003C48: 0A6E6EFA FF015318
	v_cvt_f32_i32_e32 v56, v56                                 // 000000003C50: 7E700B38
	v_cvt_f32_i32_e32 v57, v57                                 // 000000003C54: 7E720B39
	v_cvt_f32_i32_e32 v58, v58                                 // 000000003C58: 7E740B3A
	v_cvt_f32_i32_e32 v59, v59                                 // 000000003C5C: 7E760B3B
	v_mul_f32_dpp v56, v24, v56 row_newbcast:0 row_mask:0xf bank_mask:0xf// 000000003C60: 0A7070FA FF015018
	v_mul_f32_dpp v57, v24, v57 row_newbcast:1 row_mask:0xf bank_mask:0xf// 000000003C68: 0A7272FA FF015118
	v_mul_f32_dpp v58, v24, v58 row_newbcast:2 row_mask:0xf bank_mask:0xf// 000000003C70: 0A7474FA FF015218
	v_mul_f32_dpp v59, v24, v59 row_newbcast:3 row_mask:0xf bank_mask:0xf// 000000003C78: 0A7676FA FF015318
	v_cvt_f32_i32_e32 v60, v60                                 // 000000003C80: 7E780B3C
	v_cvt_f32_i32_e32 v61, v61                                 // 000000003C84: 7E7A0B3D
	v_cvt_f32_i32_e32 v62, v62                                 // 000000003C88: 7E7C0B3E
	v_cvt_f32_i32_e32 v63, v63                                 // 000000003C8C: 7E7E0B3F
	v_mul_f32_dpp v60, v24, v60 row_newbcast:0 row_mask:0xf bank_mask:0xf// 000000003C90: 0A7878FA FF015018
	v_mul_f32_dpp v61, v24, v61 row_newbcast:1 row_mask:0xf bank_mask:0xf// 000000003C98: 0A7A7AFA FF015118
	v_mul_f32_dpp v62, v24, v62 row_newbcast:2 row_mask:0xf bank_mask:0xf// 000000003CA0: 0A7C7CFA FF015218
	v_mul_f32_dpp v63, v24, v63 row_newbcast:3 row_mask:0xf bank_mask:0xf// 000000003CA8: 0A7E7EFA FF015318
	v_cvt_f32_i32_e32 v64, v64                                 // 000000003CB0: 7E800B40
	v_cvt_f32_i32_e32 v65, v65                                 // 000000003CB4: 7E820B41
	v_cvt_f32_i32_e32 v66, v66                                 // 000000003CB8: 7E840B42
	v_cvt_f32_i32_e32 v67, v67                                 // 000000003CBC: 7E860B43
	v_mul_f32_dpp v64, v24, v64 row_newbcast:4 row_mask:0xf bank_mask:0xf// 000000003CC0: 0A8080FA FF015418
	v_mul_f32_dpp v65, v24, v65 row_newbcast:5 row_mask:0xf bank_mask:0xf// 000000003CC8: 0A8282FA FF015518
	v_mul_f32_dpp v66, v24, v66 row_newbcast:6 row_mask:0xf bank_mask:0xf// 000000003CD0: 0A8484FA FF015618
	v_mul_f32_dpp v67, v24, v67 row_newbcast:7 row_mask:0xf bank_mask:0xf// 000000003CD8: 0A8686FA FF015718
	v_cvt_f32_i32_e32 v68, v68                                 // 000000003CE0: 7E880B44
	v_cvt_f32_i32_e32 v69, v69                                 // 000000003CE4: 7E8A0B45
	v_cvt_f32_i32_e32 v70, v70                                 // 000000003CE8: 7E8C0B46
	v_cvt_f32_i32_e32 v71, v71                                 // 000000003CEC: 7E8E0B47
	v_mul_f32_dpp v68, v24, v68 row_newbcast:4 row_mask:0xf bank_mask:0xf// 000000003CF0: 0A8888FA FF015418
	v_mul_f32_dpp v69, v24, v69 row_newbcast:5 row_mask:0xf bank_mask:0xf// 000000003CF8: 0A8A8AFA FF015518
	v_mul_f32_dpp v70, v24, v70 row_newbcast:6 row_mask:0xf bank_mask:0xf// 000000003D00: 0A8C8CFA FF015618
	v_mul_f32_dpp v71, v24, v71 row_newbcast:7 row_mask:0xf bank_mask:0xf// 000000003D08: 0A8E8EFA FF015718
	v_cvt_f32_i32_e32 v72, v72                                 // 000000003D10: 7E900B48
	v_cvt_f32_i32_e32 v73, v73                                 // 000000003D14: 7E920B49
	v_cvt_f32_i32_e32 v74, v74                                 // 000000003D18: 7E940B4A
	v_cvt_f32_i32_e32 v75, v75                                 // 000000003D1C: 7E960B4B
	v_mul_f32_dpp v72, v24, v72 row_newbcast:4 row_mask:0xf bank_mask:0xf// 000000003D20: 0A9090FA FF015418
	v_mul_f32_dpp v73, v24, v73 row_newbcast:5 row_mask:0xf bank_mask:0xf// 000000003D28: 0A9292FA FF015518
	v_mul_f32_dpp v74, v24, v74 row_newbcast:6 row_mask:0xf bank_mask:0xf// 000000003D30: 0A9494FA FF015618
	v_mul_f32_dpp v75, v24, v75 row_newbcast:7 row_mask:0xf bank_mask:0xf// 000000003D38: 0A9696FA FF015718
	v_cvt_f32_i32_e32 v76, v76                                 // 000000003D40: 7E980B4C
	v_cvt_f32_i32_e32 v77, v77                                 // 000000003D44: 7E9A0B4D
	v_cvt_f32_i32_e32 v78, v78                                 // 000000003D48: 7E9C0B4E
	v_cvt_f32_i32_e32 v79, v79                                 // 000000003D4C: 7E9E0B4F
	v_mul_f32_dpp v76, v24, v76 row_newbcast:8 row_mask:0xf bank_mask:0xf// 000000003D50: 0A9898FA FF015818
	v_mul_f32_dpp v77, v24, v77 row_newbcast:9 row_mask:0xf bank_mask:0xf// 000000003D58: 0A9A9AFA FF015918
	v_mul_f32_dpp v78, v24, v78 row_newbcast:10 row_mask:0xf bank_mask:0xf// 000000003D60: 0A9C9CFA FF015A18
	v_mul_f32_dpp v79, v24, v79 row_newbcast:11 row_mask:0xf bank_mask:0xf// 000000003D68: 0A9E9EFA FF015B18
	v_cvt_f32_i32_e32 v80, v80                                 // 000000003D70: 7EA00B50
	v_cvt_f32_i32_e32 v81, v81                                 // 000000003D74: 7EA20B51
	v_cvt_f32_i32_e32 v82, v82                                 // 000000003D78: 7EA40B52
	v_cvt_f32_i32_e32 v83, v83                                 // 000000003D7C: 7EA60B53
	v_mul_f32_dpp v80, v24, v80 row_newbcast:8 row_mask:0xf bank_mask:0xf// 000000003D80: 0AA0A0FA FF015818
	v_mul_f32_dpp v81, v24, v81 row_newbcast:9 row_mask:0xf bank_mask:0xf// 000000003D88: 0AA2A2FA FF015918
	v_mul_f32_dpp v82, v24, v82 row_newbcast:10 row_mask:0xf bank_mask:0xf// 000000003D90: 0AA4A4FA FF015A18
	v_mul_f32_dpp v83, v24, v83 row_newbcast:11 row_mask:0xf bank_mask:0xf// 000000003D98: 0AA6A6FA FF015B18
	v_cvt_f32_i32_e32 v84, v84                                 // 000000003DA0: 7EA80B54
	v_cvt_f32_i32_e32 v85, v85                                 // 000000003DA4: 7EAA0B55
	v_cvt_f32_i32_e32 v86, v86                                 // 000000003DA8: 7EAC0B56
	v_cvt_f32_i32_e32 v87, v87                                 // 000000003DAC: 7EAE0B57
	v_mul_f32_dpp v84, v24, v84 row_newbcast:8 row_mask:0xf bank_mask:0xf// 000000003DB0: 0AA8A8FA FF015818
	v_mul_f32_dpp v85, v24, v85 row_newbcast:9 row_mask:0xf bank_mask:0xf// 000000003DB8: 0AAAAAFA FF015918
	v_mul_f32_dpp v86, v24, v86 row_newbcast:10 row_mask:0xf bank_mask:0xf// 000000003DC0: 0AACACFA FF015A18
	v_mul_f32_dpp v87, v24, v87 row_newbcast:11 row_mask:0xf bank_mask:0xf// 000000003DC8: 0AAEAEFA FF015B18
	v_cvt_f32_i32_e32 v88, v88                                 // 000000003DD0: 7EB00B58
	v_cvt_f32_i32_e32 v89, v89                                 // 000000003DD4: 7EB20B59
	v_cvt_f32_i32_e32 v90, v90                                 // 000000003DD8: 7EB40B5A
	v_cvt_f32_i32_e32 v91, v91                                 // 000000003DDC: 7EB60B5B
	v_mul_f32_dpp v88, v24, v88 row_newbcast:12 row_mask:0xf bank_mask:0xf// 000000003DE0: 0AB0B0FA FF015C18
	v_mul_f32_dpp v89, v24, v89 row_newbcast:13 row_mask:0xf bank_mask:0xf// 000000003DE8: 0AB2B2FA FF015D18
	v_mul_f32_dpp v90, v24, v90 row_newbcast:14 row_mask:0xf bank_mask:0xf// 000000003DF0: 0AB4B4FA FF015E18
	v_mul_f32_dpp v91, v24, v91 row_newbcast:15 row_mask:0xf bank_mask:0xf// 000000003DF8: 0AB6B6FA FF015F18
	v_cvt_f32_i32_e32 v92, v92                                 // 000000003E00: 7EB80B5C
	v_cvt_f32_i32_e32 v93, v93                                 // 000000003E04: 7EBA0B5D
	v_cvt_f32_i32_e32 v94, v94                                 // 000000003E08: 7EBC0B5E
	v_cvt_f32_i32_e32 v95, v95                                 // 000000003E0C: 7EBE0B5F
	v_mul_f32_dpp v92, v24, v92 row_newbcast:12 row_mask:0xf bank_mask:0xf// 000000003E10: 0AB8B8FA FF015C18
	v_mul_f32_dpp v93, v24, v93 row_newbcast:13 row_mask:0xf bank_mask:0xf// 000000003E18: 0ABABAFA FF015D18
	v_mul_f32_dpp v94, v24, v94 row_newbcast:14 row_mask:0xf bank_mask:0xf// 000000003E20: 0ABCBCFA FF015E18
	v_mul_f32_dpp v95, v24, v95 row_newbcast:15 row_mask:0xf bank_mask:0xf// 000000003E28: 0ABEBEFA FF015F18
	v_cvt_f32_i32_e32 v96, v96                                 // 000000003E30: 7EC00B60
	v_cvt_f32_i32_e32 v97, v97                                 // 000000003E34: 7EC20B61
	v_cvt_f32_i32_e32 v98, v98                                 // 000000003E38: 7EC40B62
	v_cvt_f32_i32_e32 v99, v99                                 // 000000003E3C: 7EC60B63
	v_mul_f32_dpp v96, v24, v96 row_newbcast:12 row_mask:0xf bank_mask:0xf// 000000003E40: 0AC0C0FA FF015C18
	v_mul_f32_dpp v97, v24, v97 row_newbcast:13 row_mask:0xf bank_mask:0xf// 000000003E48: 0AC2C2FA FF015D18
	v_mul_f32_dpp v98, v24, v98 row_newbcast:14 row_mask:0xf bank_mask:0xf// 000000003E50: 0AC4C4FA FF015E18
	v_mul_f32_dpp v99, v24, v99 row_newbcast:15 row_mask:0xf bank_mask:0xf// 000000003E58: 0AC6C6FA FF015F18
	v_cvt_f32_i32_e32 v100, v100                               // 000000003E60: 7EC80B64
	v_cvt_f32_i32_e32 v101, v101                               // 000000003E64: 7ECA0B65
	v_cvt_f32_i32_e32 v102, v102                               // 000000003E68: 7ECC0B66
	v_cvt_f32_i32_e32 v103, v103                               // 000000003E6C: 7ECE0B67
	v_mul_f32_dpp v100, v26, v100 row_newbcast:0 row_mask:0xf bank_mask:0xf// 000000003E70: 0AC8C8FA FF01501A
	v_mul_f32_dpp v101, v26, v101 row_newbcast:1 row_mask:0xf bank_mask:0xf// 000000003E78: 0ACACAFA FF01511A
	v_mul_f32_dpp v102, v26, v102 row_newbcast:2 row_mask:0xf bank_mask:0xf// 000000003E80: 0ACCCCFA FF01521A
	v_mul_f32_dpp v103, v26, v103 row_newbcast:3 row_mask:0xf bank_mask:0xf// 000000003E88: 0ACECEFA FF01531A
	v_cvt_f32_i32_e32 v104, v104                               // 000000003E90: 7ED00B68
	v_cvt_f32_i32_e32 v105, v105                               // 000000003E94: 7ED20B69
	v_cvt_f32_i32_e32 v106, v106                               // 000000003E98: 7ED40B6A
	v_cvt_f32_i32_e32 v107, v107                               // 000000003E9C: 7ED60B6B
	v_mul_f32_dpp v104, v26, v104 row_newbcast:0 row_mask:0xf bank_mask:0xf// 000000003EA0: 0AD0D0FA FF01501A
	v_mul_f32_dpp v105, v26, v105 row_newbcast:1 row_mask:0xf bank_mask:0xf// 000000003EA8: 0AD2D2FA FF01511A
	v_mul_f32_dpp v106, v26, v106 row_newbcast:2 row_mask:0xf bank_mask:0xf// 000000003EB0: 0AD4D4FA FF01521A
	v_mul_f32_dpp v107, v26, v107 row_newbcast:3 row_mask:0xf bank_mask:0xf// 000000003EB8: 0AD6D6FA FF01531A
	v_cvt_f32_i32_e32 v108, v108                               // 000000003EC0: 7ED80B6C
	v_cvt_f32_i32_e32 v109, v109                               // 000000003EC4: 7EDA0B6D
	v_cvt_f32_i32_e32 v110, v110                               // 000000003EC8: 7EDC0B6E
	v_cvt_f32_i32_e32 v111, v111                               // 000000003ECC: 7EDE0B6F
	v_mul_f32_dpp v108, v26, v108 row_newbcast:0 row_mask:0xf bank_mask:0xf// 000000003ED0: 0AD8D8FA FF01501A
	v_mul_f32_dpp v109, v26, v109 row_newbcast:1 row_mask:0xf bank_mask:0xf// 000000003ED8: 0ADADAFA FF01511A
	v_mul_f32_dpp v110, v26, v110 row_newbcast:2 row_mask:0xf bank_mask:0xf// 000000003EE0: 0ADCDCFA FF01521A
	v_mul_f32_dpp v111, v26, v111 row_newbcast:3 row_mask:0xf bank_mask:0xf// 000000003EE8: 0ADEDEFA FF01531A
	v_cvt_f32_i32_e32 v112, v112                               // 000000003EF0: 7EE00B70
	v_cvt_f32_i32_e32 v113, v113                               // 000000003EF4: 7EE20B71
	v_cvt_f32_i32_e32 v114, v114                               // 000000003EF8: 7EE40B72
	v_cvt_f32_i32_e32 v115, v115                               // 000000003EFC: 7EE60B73
	v_mul_f32_dpp v112, v26, v112 row_newbcast:4 row_mask:0xf bank_mask:0xf// 000000003F00: 0AE0E0FA FF01541A
	v_mul_f32_dpp v113, v26, v113 row_newbcast:5 row_mask:0xf bank_mask:0xf// 000000003F08: 0AE2E2FA FF01551A
	v_mul_f32_dpp v114, v26, v114 row_newbcast:6 row_mask:0xf bank_mask:0xf// 000000003F10: 0AE4E4FA FF01561A
	v_mul_f32_dpp v115, v26, v115 row_newbcast:7 row_mask:0xf bank_mask:0xf// 000000003F18: 0AE6E6FA FF01571A
	v_cvt_f32_i32_e32 v116, v116                               // 000000003F20: 7EE80B74
	v_cvt_f32_i32_e32 v117, v117                               // 000000003F24: 7EEA0B75
	v_cvt_f32_i32_e32 v118, v118                               // 000000003F28: 7EEC0B76
	v_cvt_f32_i32_e32 v119, v119                               // 000000003F2C: 7EEE0B77
	v_mul_f32_dpp v116, v26, v116 row_newbcast:4 row_mask:0xf bank_mask:0xf// 000000003F30: 0AE8E8FA FF01541A
	v_mul_f32_dpp v117, v26, v117 row_newbcast:5 row_mask:0xf bank_mask:0xf// 000000003F38: 0AEAEAFA FF01551A
	v_mul_f32_dpp v118, v26, v118 row_newbcast:6 row_mask:0xf bank_mask:0xf// 000000003F40: 0AECECFA FF01561A
	v_mul_f32_dpp v119, v26, v119 row_newbcast:7 row_mask:0xf bank_mask:0xf// 000000003F48: 0AEEEEFA FF01571A
	v_cvt_f32_i32_e32 v120, v120                               // 000000003F50: 7EF00B78
	v_cvt_f32_i32_e32 v121, v121                               // 000000003F54: 7EF20B79
	v_cvt_f32_i32_e32 v122, v122                               // 000000003F58: 7EF40B7A
	v_cvt_f32_i32_e32 v123, v123                               // 000000003F5C: 7EF60B7B
	v_mul_f32_dpp v120, v26, v120 row_newbcast:4 row_mask:0xf bank_mask:0xf// 000000003F60: 0AF0F0FA FF01541A
	v_mul_f32_dpp v121, v26, v121 row_newbcast:5 row_mask:0xf bank_mask:0xf// 000000003F68: 0AF2F2FA FF01551A
	v_mul_f32_dpp v122, v26, v122 row_newbcast:6 row_mask:0xf bank_mask:0xf// 000000003F70: 0AF4F4FA FF01561A
	v_mul_f32_dpp v123, v26, v123 row_newbcast:7 row_mask:0xf bank_mask:0xf// 000000003F78: 0AF6F6FA FF01571A
	v_cvt_f32_i32_e32 v124, v124                               // 000000003F80: 7EF80B7C
	v_cvt_f32_i32_e32 v125, v125                               // 000000003F84: 7EFA0B7D
	v_cvt_f32_i32_e32 v126, v126                               // 000000003F88: 7EFC0B7E
	v_cvt_f32_i32_e32 v127, v127                               // 000000003F8C: 7EFE0B7F
	v_mul_f32_dpp v124, v26, v124 row_newbcast:8 row_mask:0xf bank_mask:0xf// 000000003F90: 0AF8F8FA FF01581A
	v_mul_f32_dpp v125, v26, v125 row_newbcast:9 row_mask:0xf bank_mask:0xf// 000000003F98: 0AFAFAFA FF01591A
	v_mul_f32_dpp v126, v26, v126 row_newbcast:10 row_mask:0xf bank_mask:0xf// 000000003FA0: 0AFCFCFA FF015A1A
	v_mul_f32_dpp v127, v26, v127 row_newbcast:11 row_mask:0xf bank_mask:0xf// 000000003FA8: 0AFEFEFA FF015B1A
	v_cvt_f32_i32_e32 v128, v128                               // 000000003FB0: 7F000B80
	v_cvt_f32_i32_e32 v129, v129                               // 000000003FB4: 7F020B81
	v_cvt_f32_i32_e32 v130, v130                               // 000000003FB8: 7F040B82
	v_cvt_f32_i32_e32 v131, v131                               // 000000003FBC: 7F060B83
	v_mul_f32_dpp v128, v26, v128 row_newbcast:8 row_mask:0xf bank_mask:0xf// 000000003FC0: 0B0100FA FF01581A
	v_mul_f32_dpp v129, v26, v129 row_newbcast:9 row_mask:0xf bank_mask:0xf// 000000003FC8: 0B0302FA FF01591A
	v_mul_f32_dpp v130, v26, v130 row_newbcast:10 row_mask:0xf bank_mask:0xf// 000000003FD0: 0B0504FA FF015A1A
	v_mul_f32_dpp v131, v26, v131 row_newbcast:11 row_mask:0xf bank_mask:0xf// 000000003FD8: 0B0706FA FF015B1A
	v_cvt_f32_i32_e32 v132, v132                               // 000000003FE0: 7F080B84
	v_cvt_f32_i32_e32 v133, v133                               // 000000003FE4: 7F0A0B85
	v_cvt_f32_i32_e32 v134, v134                               // 000000003FE8: 7F0C0B86
	v_cvt_f32_i32_e32 v135, v135                               // 000000003FEC: 7F0E0B87
	v_mul_f32_dpp v132, v26, v132 row_newbcast:8 row_mask:0xf bank_mask:0xf// 000000003FF0: 0B0908FA FF01581A
	v_mul_f32_dpp v133, v26, v133 row_newbcast:9 row_mask:0xf bank_mask:0xf// 000000003FF8: 0B0B0AFA FF01591A
	v_mul_f32_dpp v134, v26, v134 row_newbcast:10 row_mask:0xf bank_mask:0xf// 000000004000: 0B0D0CFA FF015A1A
	v_mul_f32_dpp v135, v26, v135 row_newbcast:11 row_mask:0xf bank_mask:0xf// 000000004008: 0B0F0EFA FF015B1A
	v_cvt_f32_i32_e32 v136, v136                               // 000000004010: 7F100B88
	v_cvt_f32_i32_e32 v137, v137                               // 000000004014: 7F120B89
	v_cvt_f32_i32_e32 v138, v138                               // 000000004018: 7F140B8A
	v_cvt_f32_i32_e32 v139, v139                               // 00000000401C: 7F160B8B
	v_mul_f32_dpp v136, v26, v136 row_newbcast:12 row_mask:0xf bank_mask:0xf// 000000004020: 0B1110FA FF015C1A
	v_mul_f32_dpp v137, v26, v137 row_newbcast:13 row_mask:0xf bank_mask:0xf// 000000004028: 0B1312FA FF015D1A
	v_mul_f32_dpp v138, v26, v138 row_newbcast:14 row_mask:0xf bank_mask:0xf// 000000004030: 0B1514FA FF015E1A
	v_mul_f32_dpp v139, v26, v139 row_newbcast:15 row_mask:0xf bank_mask:0xf// 000000004038: 0B1716FA FF015F1A
	v_cvt_f32_i32_e32 v140, v140                               // 000000004040: 7F180B8C
	v_cvt_f32_i32_e32 v141, v141                               // 000000004044: 7F1A0B8D
	v_cvt_f32_i32_e32 v142, v142                               // 000000004048: 7F1C0B8E
	v_cvt_f32_i32_e32 v143, v143                               // 00000000404C: 7F1E0B8F
	v_mul_f32_dpp v140, v26, v140 row_newbcast:12 row_mask:0xf bank_mask:0xf// 000000004050: 0B1918FA FF015C1A
	v_mul_f32_dpp v141, v26, v141 row_newbcast:13 row_mask:0xf bank_mask:0xf// 000000004058: 0B1B1AFA FF015D1A
	v_mul_f32_dpp v142, v26, v142 row_newbcast:14 row_mask:0xf bank_mask:0xf// 000000004060: 0B1D1CFA FF015E1A
	v_mul_f32_dpp v143, v26, v143 row_newbcast:15 row_mask:0xf bank_mask:0xf// 000000004068: 0B1F1EFA FF015F1A
	v_cvt_f32_i32_e32 v144, v144                               // 000000004070: 7F200B90
	v_cvt_f32_i32_e32 v145, v145                               // 000000004074: 7F220B91
	v_cvt_f32_i32_e32 v146, v146                               // 000000004078: 7F240B92
	v_cvt_f32_i32_e32 v147, v147                               // 00000000407C: 7F260B93
	v_mul_f32_dpp v144, v26, v144 row_newbcast:12 row_mask:0xf bank_mask:0xf// 000000004080: 0B2120FA FF015C1A
	v_mul_f32_dpp v145, v26, v145 row_newbcast:13 row_mask:0xf bank_mask:0xf// 000000004088: 0B2322FA FF015D1A
	v_mul_f32_dpp v146, v26, v146 row_newbcast:14 row_mask:0xf bank_mask:0xf// 000000004090: 0B2524FA FF015E1A
	v_mul_f32_dpp v147, v26, v147 row_newbcast:15 row_mask:0xf bank_mask:0xf// 000000004098: 0B2726FA FF015F1A
	v_mov_b32_e32 v4, v31                                      // 0000000040A0: 7E08031F
	v_mov_b32_e32 v5, v4                                       // 0000000040A4: 7E0A0304
	v_pk_mul_f32 v[52:53], v[4:5], v[52:53]                    // 0000000040A8: D3B14034 18026904
	v_pk_mul_f32 v[100:101], v[4:5], v[100:101]                // 0000000040B0: D3B14064 1802C904
	v_pk_mul_f32 v[54:55], v[4:5], v[54:55]                    // 0000000040B8: D3B14036 18026D04
	v_pk_mul_f32 v[102:103], v[4:5], v[102:103]                // 0000000040C0: D3B14066 1802CD04
	v_pk_mul_f32 v[64:65], v[4:5], v[64:65]                    // 0000000040C8: D3B14040 18028104
	v_pk_mul_f32 v[112:113], v[4:5], v[112:113]                // 0000000040D0: D3B14070 1802E104
	v_pk_mul_f32 v[66:67], v[4:5], v[66:67]                    // 0000000040D8: D3B14042 18028504
	v_pk_mul_f32 v[114:115], v[4:5], v[114:115]                // 0000000040E0: D3B14072 1802E504
	v_pk_mul_f32 v[76:77], v[4:5], v[76:77]                    // 0000000040E8: D3B1404C 18029904
	v_pk_mul_f32 v[124:125], v[4:5], v[124:125]                // 0000000040F0: D3B1407C 1802F904
	v_pk_mul_f32 v[78:79], v[4:5], v[78:79]                    // 0000000040F8: D3B1404E 18029D04
	v_pk_mul_f32 v[126:127], v[4:5], v[126:127]                // 000000004100: D3B1407E 1802FD04
	v_pk_mul_f32 v[88:89], v[4:5], v[88:89]                    // 000000004108: D3B14058 1802B104
	v_pk_mul_f32 v[136:137], v[4:5], v[136:137]                // 000000004110: D3B14088 18031104
	v_pk_mul_f32 v[90:91], v[4:5], v[90:91]                    // 000000004118: D3B1405A 1802B504
	v_pk_mul_f32 v[138:139], v[4:5], v[138:139]                // 000000004120: D3B1408A 18031504
	v_mov_b32_e32 v4, v32                                      // 000000004128: 7E080320
	v_mov_b32_e32 v5, v4                                       // 00000000412C: 7E0A0304
	v_pk_mul_f32 v[56:57], v[4:5], v[56:57]                    // 000000004130: D3B14038 18027104
	v_pk_mul_f32 v[104:105], v[4:5], v[104:105]                // 000000004138: D3B14068 1802D104
	v_pk_mul_f32 v[58:59], v[4:5], v[58:59]                    // 000000004140: D3B1403A 18027504
	v_pk_mul_f32 v[106:107], v[4:5], v[106:107]                // 000000004148: D3B1406A 1802D504
	v_pk_mul_f32 v[68:69], v[4:5], v[68:69]                    // 000000004150: D3B14044 18028904
	v_pk_mul_f32 v[116:117], v[4:5], v[116:117]                // 000000004158: D3B14074 1802E904
	v_pk_mul_f32 v[70:71], v[4:5], v[70:71]                    // 000000004160: D3B14046 18028D04
	v_pk_mul_f32 v[118:119], v[4:5], v[118:119]                // 000000004168: D3B14076 1802ED04
	v_pk_mul_f32 v[80:81], v[4:5], v[80:81]                    // 000000004170: D3B14050 1802A104
	v_pk_mul_f32 v[128:129], v[4:5], v[128:129]                // 000000004178: D3B14080 18030104
	v_pk_mul_f32 v[82:83], v[4:5], v[82:83]                    // 000000004180: D3B14052 1802A504
	v_pk_mul_f32 v[130:131], v[4:5], v[130:131]                // 000000004188: D3B14082 18030504
	v_pk_mul_f32 v[92:93], v[4:5], v[92:93]                    // 000000004190: D3B1405C 1802B904
	v_pk_mul_f32 v[140:141], v[4:5], v[140:141]                // 000000004198: D3B1408C 18031904
	v_pk_mul_f32 v[94:95], v[4:5], v[94:95]                    // 0000000041A0: D3B1405E 1802BD04
	v_pk_mul_f32 v[142:143], v[4:5], v[142:143]                // 0000000041A8: D3B1408E 18031D04
	v_mov_b32_e32 v4, v33                                      // 0000000041B0: 7E080321
	v_mov_b32_e32 v5, v4                                       // 0000000041B4: 7E0A0304
	v_pk_mul_f32 v[60:61], v[4:5], v[60:61]                    // 0000000041B8: D3B1403C 18027904
	v_pk_mul_f32 v[108:109], v[4:5], v[108:109]                // 0000000041C0: D3B1406C 1802D904
	v_pk_mul_f32 v[62:63], v[4:5], v[62:63]                    // 0000000041C8: D3B1403E 18027D04
	v_pk_mul_f32 v[110:111], v[4:5], v[110:111]                // 0000000041D0: D3B1406E 1802DD04
	v_pk_mul_f32 v[72:73], v[4:5], v[72:73]                    // 0000000041D8: D3B14048 18029104
	v_pk_mul_f32 v[120:121], v[4:5], v[120:121]                // 0000000041E0: D3B14078 1802F104
	v_pk_mul_f32 v[74:75], v[4:5], v[74:75]                    // 0000000041E8: D3B1404A 18029504
	v_pk_mul_f32 v[122:123], v[4:5], v[122:123]                // 0000000041F0: D3B1407A 1802F504
	v_pk_mul_f32 v[84:85], v[4:5], v[84:85]                    // 0000000041F8: D3B14054 1802A904
	v_pk_mul_f32 v[132:133], v[4:5], v[132:133]                // 000000004200: D3B14084 18030904
	v_pk_mul_f32 v[86:87], v[4:5], v[86:87]                    // 000000004208: D3B14056 1802AD04
	v_pk_mul_f32 v[134:135], v[4:5], v[134:135]                // 000000004210: D3B14086 18030D04
	v_pk_mul_f32 v[96:97], v[4:5], v[96:97]                    // 000000004218: D3B14060 1802C104
	v_pk_mul_f32 v[144:145], v[4:5], v[144:145]                // 000000004220: D3B14090 18032104
	v_pk_mul_f32 v[98:99], v[4:5], v[98:99]                    // 000000004228: D3B14062 1802C504
	v_pk_mul_f32 v[146:147], v[4:5], v[146:147]                // 000000004230: D3B14092 18032504
	s_cmp_eq_u32 s88, 0                                        // 000000004238: BF068058
	s_cbranch_scc0 label_0C3D                                  // 00000000423C: BF84062D
	s_cmp_eq_u32 s89, 0                                        // 000000004240: BF068059
	s_cbranch_scc1 label_07F7                                  // 000000004244: BF8501E5
	v_mov_b32_e32 v8, v1                                       // 000000004248: 7E100301
	v_mov_b32_e32 v9, v1                                       // 00000000424C: 7E120301
	s_mov_b32 s60, s6                                          // 000000004250: BEBC0006
	s_mov_b32 s61, s6                                          // 000000004254: BEBD0006
	v_pk_mul_f32 v[4:5], v[52:53], v[52:53]                    // 000000004258: D3B14004 18026934
	v_pk_mul_f32 v[6:7], v[54:55], v[54:55]                    // 000000004260: D3B14006 18026D36
	v_pk_fma_f32 v[4:5], v[4:5], s[78:79], v[8:9]              // 000000004268: D3B04004 1C209D04
	v_pk_fma_f32 v[6:7], v[6:7], s[78:79], v[8:9]              // 000000004270: D3B04006 1C209D06
	v_pk_mul_f32 v[4:5], v[4:5], v[52:53]                      // 000000004278: D3B14004 18026904
	v_pk_mul_f32 v[6:7], v[6:7], v[54:55]                      // 000000004280: D3B14006 18026D06
	v_pk_mul_f32 v[4:5], v[4:5], s[60:61]                      // 000000004288: D3B14004 18007904
	v_pk_mul_f32 v[6:7], v[6:7], s[60:61]                      // 000000004290: D3B14006 18007906
	v_exp_f32_e32 v4, v4                                       // 000000004298: 7E084104
	v_exp_f32_e32 v5, v5                                       // 00000000429C: 7E0A4105
	v_exp_f32_e32 v6, v6                                       // 0000000042A0: 7E0C4106
	v_exp_f32_e32 v7, v7                                       // 0000000042A4: 7E0E4107
	v_add_f32_e64 v4, v4, 1.0                                  // 0000000042A8: D1010004 0001E504
	v_add_f32_e64 v5, v5, 1.0                                  // 0000000042B0: D1010005 0001E505
	v_add_f32_e64 v6, v6, 1.0                                  // 0000000042B8: D1010006 0001E506
	v_add_f32_e64 v7, v7, 1.0                                  // 0000000042C0: D1010007 0001E507
	v_rcp_f32_e32 v4, v4                                       // 0000000042C8: 7E084504
	v_rcp_f32_e32 v5, v5                                       // 0000000042CC: 7E0A4505
	v_rcp_f32_e32 v6, v6                                       // 0000000042D0: 7E0C4506
	v_rcp_f32_e32 v7, v7                                       // 0000000042D4: 7E0E4507
	v_mul_f32_e32 v52, v52, v4                                 // 0000000042D8: 0A680934
	v_mul_f32_e32 v53, v53, v5                                 // 0000000042DC: 0A6A0B35
	v_mul_f32_e32 v54, v54, v6                                 // 0000000042E0: 0A6C0D36
	v_mul_f32_e32 v55, v55, v7                                 // 0000000042E4: 0A6E0F37
	v_mul_f32_e32 v52, v52, v100                               // 0000000042E8: 0A68C934
	v_mul_f32_e32 v53, v53, v101                               // 0000000042EC: 0A6ACB35
	v_mul_f32_e32 v54, v54, v102                               // 0000000042F0: 0A6CCD36
	v_mul_f32_e32 v55, v55, v103                               // 0000000042F4: 0A6ECF37
	v_pk_mul_f32 v[4:5], v[56:57], v[56:57]                    // 0000000042F8: D3B14004 18027138
	v_pk_mul_f32 v[6:7], v[58:59], v[58:59]                    // 000000004300: D3B14006 1802753A
	v_pk_fma_f32 v[4:5], v[4:5], s[78:79], v[8:9]              // 000000004308: D3B04004 1C209D04
	v_pk_fma_f32 v[6:7], v[6:7], s[78:79], v[8:9]              // 000000004310: D3B04006 1C209D06
	v_pk_mul_f32 v[4:5], v[4:5], v[56:57]                      // 000000004318: D3B14004 18027104
	v_pk_mul_f32 v[6:7], v[6:7], v[58:59]                      // 000000004320: D3B14006 18027506
	v_pk_mul_f32 v[4:5], v[4:5], s[60:61]                      // 000000004328: D3B14004 18007904
	v_pk_mul_f32 v[6:7], v[6:7], s[60:61]                      // 000000004330: D3B14006 18007906
	v_exp_f32_e32 v4, v4                                       // 000000004338: 7E084104
	v_exp_f32_e32 v5, v5                                       // 00000000433C: 7E0A4105
	v_exp_f32_e32 v6, v6                                       // 000000004340: 7E0C4106
	v_exp_f32_e32 v7, v7                                       // 000000004344: 7E0E4107
	v_add_f32_e64 v4, v4, 1.0                                  // 000000004348: D1010004 0001E504
	v_add_f32_e64 v5, v5, 1.0                                  // 000000004350: D1010005 0001E505
	v_add_f32_e64 v6, v6, 1.0                                  // 000000004358: D1010006 0001E506
	v_add_f32_e64 v7, v7, 1.0                                  // 000000004360: D1010007 0001E507
	v_rcp_f32_e32 v4, v4                                       // 000000004368: 7E084504
	v_rcp_f32_e32 v5, v5                                       // 00000000436C: 7E0A4505
	v_rcp_f32_e32 v6, v6                                       // 000000004370: 7E0C4506
	v_rcp_f32_e32 v7, v7                                       // 000000004374: 7E0E4507
	v_mul_f32_e32 v56, v56, v4                                 // 000000004378: 0A700938
	v_mul_f32_e32 v57, v57, v5                                 // 00000000437C: 0A720B39
	v_mul_f32_e32 v58, v58, v6                                 // 000000004380: 0A740D3A
	v_mul_f32_e32 v59, v59, v7                                 // 000000004384: 0A760F3B
	v_mul_f32_e32 v56, v56, v104                               // 000000004388: 0A70D138
	v_mul_f32_e32 v57, v57, v105                               // 00000000438C: 0A72D339
	v_mul_f32_e32 v58, v58, v106                               // 000000004390: 0A74D53A
	v_mul_f32_e32 v59, v59, v107                               // 000000004394: 0A76D73B
	v_pk_mul_f32 v[4:5], v[60:61], v[60:61]                    // 000000004398: D3B14004 1802793C
	v_pk_mul_f32 v[6:7], v[62:63], v[62:63]                    // 0000000043A0: D3B14006 18027D3E
	v_pk_fma_f32 v[4:5], v[4:5], s[78:79], v[8:9]              // 0000000043A8: D3B04004 1C209D04
	v_pk_fma_f32 v[6:7], v[6:7], s[78:79], v[8:9]              // 0000000043B0: D3B04006 1C209D06
	v_pk_mul_f32 v[4:5], v[4:5], v[60:61]                      // 0000000043B8: D3B14004 18027904
	v_pk_mul_f32 v[6:7], v[6:7], v[62:63]                      // 0000000043C0: D3B14006 18027D06
	v_pk_mul_f32 v[4:5], v[4:5], s[60:61]                      // 0000000043C8: D3B14004 18007904
	v_pk_mul_f32 v[6:7], v[6:7], s[60:61]                      // 0000000043D0: D3B14006 18007906
	v_exp_f32_e32 v4, v4                                       // 0000000043D8: 7E084104
	v_exp_f32_e32 v5, v5                                       // 0000000043DC: 7E0A4105
	v_exp_f32_e32 v6, v6                                       // 0000000043E0: 7E0C4106
	v_exp_f32_e32 v7, v7                                       // 0000000043E4: 7E0E4107
	v_add_f32_e64 v4, v4, 1.0                                  // 0000000043E8: D1010004 0001E504
	v_add_f32_e64 v5, v5, 1.0                                  // 0000000043F0: D1010005 0001E505
	v_add_f32_e64 v6, v6, 1.0                                  // 0000000043F8: D1010006 0001E506
	v_add_f32_e64 v7, v7, 1.0                                  // 000000004400: D1010007 0001E507
	v_rcp_f32_e32 v4, v4                                       // 000000004408: 7E084504
	v_rcp_f32_e32 v5, v5                                       // 00000000440C: 7E0A4505
	v_rcp_f32_e32 v6, v6                                       // 000000004410: 7E0C4506
	v_rcp_f32_e32 v7, v7                                       // 000000004414: 7E0E4507
	v_mul_f32_e32 v60, v60, v4                                 // 000000004418: 0A78093C
	v_mul_f32_e32 v61, v61, v5                                 // 00000000441C: 0A7A0B3D
	v_mul_f32_e32 v62, v62, v6                                 // 000000004420: 0A7C0D3E
	v_mul_f32_e32 v63, v63, v7                                 // 000000004424: 0A7E0F3F
	v_mul_f32_e32 v60, v60, v108                               // 000000004428: 0A78D93C
	v_mul_f32_e32 v61, v61, v109                               // 00000000442C: 0A7ADB3D
	v_mul_f32_e32 v62, v62, v110                               // 000000004430: 0A7CDD3E
	v_mul_f32_e32 v63, v63, v111                               // 000000004434: 0A7EDF3F
	v_pk_mul_f32 v[4:5], v[64:65], v[64:65]                    // 000000004438: D3B14004 18028140
	v_pk_mul_f32 v[6:7], v[66:67], v[66:67]                    // 000000004440: D3B14006 18028542
	v_pk_fma_f32 v[4:5], v[4:5], s[78:79], v[8:9]              // 000000004448: D3B04004 1C209D04
	v_pk_fma_f32 v[6:7], v[6:7], s[78:79], v[8:9]              // 000000004450: D3B04006 1C209D06
	v_pk_mul_f32 v[4:5], v[4:5], v[64:65]                      // 000000004458: D3B14004 18028104
	v_pk_mul_f32 v[6:7], v[6:7], v[66:67]                      // 000000004460: D3B14006 18028506
	v_pk_mul_f32 v[4:5], v[4:5], s[60:61]                      // 000000004468: D3B14004 18007904
	v_pk_mul_f32 v[6:7], v[6:7], s[60:61]                      // 000000004470: D3B14006 18007906
	v_exp_f32_e32 v4, v4                                       // 000000004478: 7E084104
	v_exp_f32_e32 v5, v5                                       // 00000000447C: 7E0A4105
	v_exp_f32_e32 v6, v6                                       // 000000004480: 7E0C4106
	v_exp_f32_e32 v7, v7                                       // 000000004484: 7E0E4107
	v_add_f32_e64 v4, v4, 1.0                                  // 000000004488: D1010004 0001E504
	v_add_f32_e64 v5, v5, 1.0                                  // 000000004490: D1010005 0001E505
	v_add_f32_e64 v6, v6, 1.0                                  // 000000004498: D1010006 0001E506
	v_add_f32_e64 v7, v7, 1.0                                  // 0000000044A0: D1010007 0001E507
	v_rcp_f32_e32 v4, v4                                       // 0000000044A8: 7E084504
	v_rcp_f32_e32 v5, v5                                       // 0000000044AC: 7E0A4505
	v_rcp_f32_e32 v6, v6                                       // 0000000044B0: 7E0C4506
	v_rcp_f32_e32 v7, v7                                       // 0000000044B4: 7E0E4507
	v_mul_f32_e32 v64, v64, v4                                 // 0000000044B8: 0A800940
	v_mul_f32_e32 v65, v65, v5                                 // 0000000044BC: 0A820B41
	v_mul_f32_e32 v66, v66, v6                                 // 0000000044C0: 0A840D42
	v_mul_f32_e32 v67, v67, v7                                 // 0000000044C4: 0A860F43
	v_mul_f32_e32 v64, v64, v112                               // 0000000044C8: 0A80E140
	v_mul_f32_e32 v65, v65, v113                               // 0000000044CC: 0A82E341
	v_mul_f32_e32 v66, v66, v114                               // 0000000044D0: 0A84E542
	v_mul_f32_e32 v67, v67, v115                               // 0000000044D4: 0A86E743
	v_pk_mul_f32 v[4:5], v[68:69], v[68:69]                    // 0000000044D8: D3B14004 18028944
	v_pk_mul_f32 v[6:7], v[70:71], v[70:71]                    // 0000000044E0: D3B14006 18028D46
	v_pk_fma_f32 v[4:5], v[4:5], s[78:79], v[8:9]              // 0000000044E8: D3B04004 1C209D04
	v_pk_fma_f32 v[6:7], v[6:7], s[78:79], v[8:9]              // 0000000044F0: D3B04006 1C209D06
	v_pk_mul_f32 v[4:5], v[4:5], v[68:69]                      // 0000000044F8: D3B14004 18028904
	v_pk_mul_f32 v[6:7], v[6:7], v[70:71]                      // 000000004500: D3B14006 18028D06
	v_pk_mul_f32 v[4:5], v[4:5], s[60:61]                      // 000000004508: D3B14004 18007904
	v_pk_mul_f32 v[6:7], v[6:7], s[60:61]                      // 000000004510: D3B14006 18007906
	v_exp_f32_e32 v4, v4                                       // 000000004518: 7E084104
	v_exp_f32_e32 v5, v5                                       // 00000000451C: 7E0A4105
	v_exp_f32_e32 v6, v6                                       // 000000004520: 7E0C4106
	v_exp_f32_e32 v7, v7                                       // 000000004524: 7E0E4107
	v_add_f32_e64 v4, v4, 1.0                                  // 000000004528: D1010004 0001E504
	v_add_f32_e64 v5, v5, 1.0                                  // 000000004530: D1010005 0001E505
	v_add_f32_e64 v6, v6, 1.0                                  // 000000004538: D1010006 0001E506
	v_add_f32_e64 v7, v7, 1.0                                  // 000000004540: D1010007 0001E507
	v_rcp_f32_e32 v4, v4                                       // 000000004548: 7E084504
	v_rcp_f32_e32 v5, v5                                       // 00000000454C: 7E0A4505
	v_rcp_f32_e32 v6, v6                                       // 000000004550: 7E0C4506
	v_rcp_f32_e32 v7, v7                                       // 000000004554: 7E0E4507
	v_mul_f32_e32 v68, v68, v4                                 // 000000004558: 0A880944
	v_mul_f32_e32 v69, v69, v5                                 // 00000000455C: 0A8A0B45
	v_mul_f32_e32 v70, v70, v6                                 // 000000004560: 0A8C0D46
	v_mul_f32_e32 v71, v71, v7                                 // 000000004564: 0A8E0F47
	v_mul_f32_e32 v68, v68, v116                               // 000000004568: 0A88E944
	v_mul_f32_e32 v69, v69, v117                               // 00000000456C: 0A8AEB45
	v_mul_f32_e32 v70, v70, v118                               // 000000004570: 0A8CED46
	v_mul_f32_e32 v71, v71, v119                               // 000000004574: 0A8EEF47
	v_pk_mul_f32 v[4:5], v[72:73], v[72:73]                    // 000000004578: D3B14004 18029148
	v_pk_mul_f32 v[6:7], v[74:75], v[74:75]                    // 000000004580: D3B14006 1802954A
	v_pk_fma_f32 v[4:5], v[4:5], s[78:79], v[8:9]              // 000000004588: D3B04004 1C209D04
	v_pk_fma_f32 v[6:7], v[6:7], s[78:79], v[8:9]              // 000000004590: D3B04006 1C209D06
	v_pk_mul_f32 v[4:5], v[4:5], v[72:73]                      // 000000004598: D3B14004 18029104
	v_pk_mul_f32 v[6:7], v[6:7], v[74:75]                      // 0000000045A0: D3B14006 18029506
	v_pk_mul_f32 v[4:5], v[4:5], s[60:61]                      // 0000000045A8: D3B14004 18007904
	v_pk_mul_f32 v[6:7], v[6:7], s[60:61]                      // 0000000045B0: D3B14006 18007906
	v_exp_f32_e32 v4, v4                                       // 0000000045B8: 7E084104
	v_exp_f32_e32 v5, v5                                       // 0000000045BC: 7E0A4105
	v_exp_f32_e32 v6, v6                                       // 0000000045C0: 7E0C4106
	v_exp_f32_e32 v7, v7                                       // 0000000045C4: 7E0E4107
	v_add_f32_e64 v4, v4, 1.0                                  // 0000000045C8: D1010004 0001E504
	v_add_f32_e64 v5, v5, 1.0                                  // 0000000045D0: D1010005 0001E505
	v_add_f32_e64 v6, v6, 1.0                                  // 0000000045D8: D1010006 0001E506
	v_add_f32_e64 v7, v7, 1.0                                  // 0000000045E0: D1010007 0001E507
	v_rcp_f32_e32 v4, v4                                       // 0000000045E8: 7E084504
	v_rcp_f32_e32 v5, v5                                       // 0000000045EC: 7E0A4505
	v_rcp_f32_e32 v6, v6                                       // 0000000045F0: 7E0C4506
	v_rcp_f32_e32 v7, v7                                       // 0000000045F4: 7E0E4507
	v_mul_f32_e32 v72, v72, v4                                 // 0000000045F8: 0A900948
	v_mul_f32_e32 v73, v73, v5                                 // 0000000045FC: 0A920B49
	v_mul_f32_e32 v74, v74, v6                                 // 000000004600: 0A940D4A
	v_mul_f32_e32 v75, v75, v7                                 // 000000004604: 0A960F4B
	v_mul_f32_e32 v72, v72, v120                               // 000000004608: 0A90F148
	v_mul_f32_e32 v73, v73, v121                               // 00000000460C: 0A92F349
	v_mul_f32_e32 v74, v74, v122                               // 000000004610: 0A94F54A
	v_mul_f32_e32 v75, v75, v123                               // 000000004614: 0A96F74B
	v_pk_mul_f32 v[4:5], v[76:77], v[76:77]                    // 000000004618: D3B14004 1802994C
	v_pk_mul_f32 v[6:7], v[78:79], v[78:79]                    // 000000004620: D3B14006 18029D4E
	v_pk_fma_f32 v[4:5], v[4:5], s[78:79], v[8:9]              // 000000004628: D3B04004 1C209D04
	v_pk_fma_f32 v[6:7], v[6:7], s[78:79], v[8:9]              // 000000004630: D3B04006 1C209D06
	v_pk_mul_f32 v[4:5], v[4:5], v[76:77]                      // 000000004638: D3B14004 18029904
	v_pk_mul_f32 v[6:7], v[6:7], v[78:79]                      // 000000004640: D3B14006 18029D06
	v_pk_mul_f32 v[4:5], v[4:5], s[60:61]                      // 000000004648: D3B14004 18007904
	v_pk_mul_f32 v[6:7], v[6:7], s[60:61]                      // 000000004650: D3B14006 18007906
	v_exp_f32_e32 v4, v4                                       // 000000004658: 7E084104
	v_exp_f32_e32 v5, v5                                       // 00000000465C: 7E0A4105
	v_exp_f32_e32 v6, v6                                       // 000000004660: 7E0C4106
	v_exp_f32_e32 v7, v7                                       // 000000004664: 7E0E4107
	v_add_f32_e64 v4, v4, 1.0                                  // 000000004668: D1010004 0001E504
	v_add_f32_e64 v5, v5, 1.0                                  // 000000004670: D1010005 0001E505
	v_add_f32_e64 v6, v6, 1.0                                  // 000000004678: D1010006 0001E506
	v_add_f32_e64 v7, v7, 1.0                                  // 000000004680: D1010007 0001E507
	v_rcp_f32_e32 v4, v4                                       // 000000004688: 7E084504
	v_rcp_f32_e32 v5, v5                                       // 00000000468C: 7E0A4505
	v_rcp_f32_e32 v6, v6                                       // 000000004690: 7E0C4506
	v_rcp_f32_e32 v7, v7                                       // 000000004694: 7E0E4507
	v_mul_f32_e32 v76, v76, v4                                 // 000000004698: 0A98094C
	v_mul_f32_e32 v77, v77, v5                                 // 00000000469C: 0A9A0B4D
	v_mul_f32_e32 v78, v78, v6                                 // 0000000046A0: 0A9C0D4E
	v_mul_f32_e32 v79, v79, v7                                 // 0000000046A4: 0A9E0F4F
	v_mul_f32_e32 v76, v76, v124                               // 0000000046A8: 0A98F94C
	v_mul_f32_e32 v77, v77, v125                               // 0000000046AC: 0A9AFB4D
	v_mul_f32_e32 v78, v78, v126                               // 0000000046B0: 0A9CFD4E
	v_mul_f32_e32 v79, v79, v127                               // 0000000046B4: 0A9EFF4F
	v_pk_mul_f32 v[4:5], v[80:81], v[80:81]                    // 0000000046B8: D3B14004 1802A150
	v_pk_mul_f32 v[6:7], v[82:83], v[82:83]                    // 0000000046C0: D3B14006 1802A552
	v_pk_fma_f32 v[4:5], v[4:5], s[78:79], v[8:9]              // 0000000046C8: D3B04004 1C209D04
	v_pk_fma_f32 v[6:7], v[6:7], s[78:79], v[8:9]              // 0000000046D0: D3B04006 1C209D06
	v_pk_mul_f32 v[4:5], v[4:5], v[80:81]                      // 0000000046D8: D3B14004 1802A104
	v_pk_mul_f32 v[6:7], v[6:7], v[82:83]                      // 0000000046E0: D3B14006 1802A506
	v_pk_mul_f32 v[4:5], v[4:5], s[60:61]                      // 0000000046E8: D3B14004 18007904
	v_pk_mul_f32 v[6:7], v[6:7], s[60:61]                      // 0000000046F0: D3B14006 18007906
	v_exp_f32_e32 v4, v4                                       // 0000000046F8: 7E084104
	v_exp_f32_e32 v5, v5                                       // 0000000046FC: 7E0A4105
	v_exp_f32_e32 v6, v6                                       // 000000004700: 7E0C4106
	v_exp_f32_e32 v7, v7                                       // 000000004704: 7E0E4107
	v_add_f32_e64 v4, v4, 1.0                                  // 000000004708: D1010004 0001E504
	v_add_f32_e64 v5, v5, 1.0                                  // 000000004710: D1010005 0001E505
	v_add_f32_e64 v6, v6, 1.0                                  // 000000004718: D1010006 0001E506
	v_add_f32_e64 v7, v7, 1.0                                  // 000000004720: D1010007 0001E507
	v_rcp_f32_e32 v4, v4                                       // 000000004728: 7E084504
	v_rcp_f32_e32 v5, v5                                       // 00000000472C: 7E0A4505
	v_rcp_f32_e32 v6, v6                                       // 000000004730: 7E0C4506
	v_rcp_f32_e32 v7, v7                                       // 000000004734: 7E0E4507
	v_mul_f32_e32 v80, v80, v4                                 // 000000004738: 0AA00950
	v_mul_f32_e32 v81, v81, v5                                 // 00000000473C: 0AA20B51
	v_mul_f32_e32 v82, v82, v6                                 // 000000004740: 0AA40D52
	v_mul_f32_e32 v83, v83, v7                                 // 000000004744: 0AA60F53
	v_mul_f32_e32 v80, v80, v128                               // 000000004748: 0AA10150
	v_mul_f32_e32 v81, v81, v129                               // 00000000474C: 0AA30351
	v_mul_f32_e32 v82, v82, v130                               // 000000004750: 0AA50552
	v_mul_f32_e32 v83, v83, v131                               // 000000004754: 0AA70753
	v_pk_mul_f32 v[4:5], v[84:85], v[84:85]                    // 000000004758: D3B14004 1802A954
	v_pk_mul_f32 v[6:7], v[86:87], v[86:87]                    // 000000004760: D3B14006 1802AD56
	v_pk_fma_f32 v[4:5], v[4:5], s[78:79], v[8:9]              // 000000004768: D3B04004 1C209D04
	v_pk_fma_f32 v[6:7], v[6:7], s[78:79], v[8:9]              // 000000004770: D3B04006 1C209D06
	v_pk_mul_f32 v[4:5], v[4:5], v[84:85]                      // 000000004778: D3B14004 1802A904
	v_pk_mul_f32 v[6:7], v[6:7], v[86:87]                      // 000000004780: D3B14006 1802AD06
	v_pk_mul_f32 v[4:5], v[4:5], s[60:61]                      // 000000004788: D3B14004 18007904
	v_pk_mul_f32 v[6:7], v[6:7], s[60:61]                      // 000000004790: D3B14006 18007906
	v_exp_f32_e32 v4, v4                                       // 000000004798: 7E084104
	v_exp_f32_e32 v5, v5                                       // 00000000479C: 7E0A4105
	v_exp_f32_e32 v6, v6                                       // 0000000047A0: 7E0C4106
	v_exp_f32_e32 v7, v7                                       // 0000000047A4: 7E0E4107
	v_add_f32_e64 v4, v4, 1.0                                  // 0000000047A8: D1010004 0001E504
	v_add_f32_e64 v5, v5, 1.0                                  // 0000000047B0: D1010005 0001E505
	v_add_f32_e64 v6, v6, 1.0                                  // 0000000047B8: D1010006 0001E506
	v_add_f32_e64 v7, v7, 1.0                                  // 0000000047C0: D1010007 0001E507
	v_rcp_f32_e32 v4, v4                                       // 0000000047C8: 7E084504
	v_rcp_f32_e32 v5, v5                                       // 0000000047CC: 7E0A4505
	v_rcp_f32_e32 v6, v6                                       // 0000000047D0: 7E0C4506
	v_rcp_f32_e32 v7, v7                                       // 0000000047D4: 7E0E4507
	v_mul_f32_e32 v84, v84, v4                                 // 0000000047D8: 0AA80954
	v_mul_f32_e32 v85, v85, v5                                 // 0000000047DC: 0AAA0B55
	v_mul_f32_e32 v86, v86, v6                                 // 0000000047E0: 0AAC0D56
	v_mul_f32_e32 v87, v87, v7                                 // 0000000047E4: 0AAE0F57
	v_mul_f32_e32 v84, v84, v132                               // 0000000047E8: 0AA90954
	v_mul_f32_e32 v85, v85, v133                               // 0000000047EC: 0AAB0B55
	v_mul_f32_e32 v86, v86, v134                               // 0000000047F0: 0AAD0D56
	v_mul_f32_e32 v87, v87, v135                               // 0000000047F4: 0AAF0F57
	v_pk_mul_f32 v[4:5], v[88:89], v[88:89]                    // 0000000047F8: D3B14004 1802B158
	v_pk_mul_f32 v[6:7], v[90:91], v[90:91]                    // 000000004800: D3B14006 1802B55A
	v_pk_fma_f32 v[4:5], v[4:5], s[78:79], v[8:9]              // 000000004808: D3B04004 1C209D04
	v_pk_fma_f32 v[6:7], v[6:7], s[78:79], v[8:9]              // 000000004810: D3B04006 1C209D06
	v_pk_mul_f32 v[4:5], v[4:5], v[88:89]                      // 000000004818: D3B14004 1802B104
	v_pk_mul_f32 v[6:7], v[6:7], v[90:91]                      // 000000004820: D3B14006 1802B506
	v_pk_mul_f32 v[4:5], v[4:5], s[60:61]                      // 000000004828: D3B14004 18007904
	v_pk_mul_f32 v[6:7], v[6:7], s[60:61]                      // 000000004830: D3B14006 18007906
	v_exp_f32_e32 v4, v4                                       // 000000004838: 7E084104
	v_exp_f32_e32 v5, v5                                       // 00000000483C: 7E0A4105
	v_exp_f32_e32 v6, v6                                       // 000000004840: 7E0C4106
	v_exp_f32_e32 v7, v7                                       // 000000004844: 7E0E4107
	v_add_f32_e64 v4, v4, 1.0                                  // 000000004848: D1010004 0001E504
	v_add_f32_e64 v5, v5, 1.0                                  // 000000004850: D1010005 0001E505
	v_add_f32_e64 v6, v6, 1.0                                  // 000000004858: D1010006 0001E506
	v_add_f32_e64 v7, v7, 1.0                                  // 000000004860: D1010007 0001E507
	v_rcp_f32_e32 v4, v4                                       // 000000004868: 7E084504
	v_rcp_f32_e32 v5, v5                                       // 00000000486C: 7E0A4505
	v_rcp_f32_e32 v6, v6                                       // 000000004870: 7E0C4506
	v_rcp_f32_e32 v7, v7                                       // 000000004874: 7E0E4507
	v_mul_f32_e32 v88, v88, v4                                 // 000000004878: 0AB00958
	v_mul_f32_e32 v89, v89, v5                                 // 00000000487C: 0AB20B59
	v_mul_f32_e32 v90, v90, v6                                 // 000000004880: 0AB40D5A
	v_mul_f32_e32 v91, v91, v7                                 // 000000004884: 0AB60F5B
	v_mul_f32_e32 v88, v88, v136                               // 000000004888: 0AB11158
	v_mul_f32_e32 v89, v89, v137                               // 00000000488C: 0AB31359
	v_mul_f32_e32 v90, v90, v138                               // 000000004890: 0AB5155A
	v_mul_f32_e32 v91, v91, v139                               // 000000004894: 0AB7175B
	v_pk_mul_f32 v[4:5], v[92:93], v[92:93]                    // 000000004898: D3B14004 1802B95C
	v_pk_mul_f32 v[6:7], v[94:95], v[94:95]                    // 0000000048A0: D3B14006 1802BD5E
	v_pk_fma_f32 v[4:5], v[4:5], s[78:79], v[8:9]              // 0000000048A8: D3B04004 1C209D04
	v_pk_fma_f32 v[6:7], v[6:7], s[78:79], v[8:9]              // 0000000048B0: D3B04006 1C209D06
	v_pk_mul_f32 v[4:5], v[4:5], v[92:93]                      // 0000000048B8: D3B14004 1802B904
	v_pk_mul_f32 v[6:7], v[6:7], v[94:95]                      // 0000000048C0: D3B14006 1802BD06
	v_pk_mul_f32 v[4:5], v[4:5], s[60:61]                      // 0000000048C8: D3B14004 18007904
	v_pk_mul_f32 v[6:7], v[6:7], s[60:61]                      // 0000000048D0: D3B14006 18007906
	v_exp_f32_e32 v4, v4                                       // 0000000048D8: 7E084104
	v_exp_f32_e32 v5, v5                                       // 0000000048DC: 7E0A4105
	v_exp_f32_e32 v6, v6                                       // 0000000048E0: 7E0C4106
	v_exp_f32_e32 v7, v7                                       // 0000000048E4: 7E0E4107
	v_add_f32_e64 v4, v4, 1.0                                  // 0000000048E8: D1010004 0001E504
	v_add_f32_e64 v5, v5, 1.0                                  // 0000000048F0: D1010005 0001E505
	v_add_f32_e64 v6, v6, 1.0                                  // 0000000048F8: D1010006 0001E506
	v_add_f32_e64 v7, v7, 1.0                                  // 000000004900: D1010007 0001E507
	v_rcp_f32_e32 v4, v4                                       // 000000004908: 7E084504
	v_rcp_f32_e32 v5, v5                                       // 00000000490C: 7E0A4505
	v_rcp_f32_e32 v6, v6                                       // 000000004910: 7E0C4506
	v_rcp_f32_e32 v7, v7                                       // 000000004914: 7E0E4507
	v_mul_f32_e32 v92, v92, v4                                 // 000000004918: 0AB8095C
	v_mul_f32_e32 v93, v93, v5                                 // 00000000491C: 0ABA0B5D
	v_mul_f32_e32 v94, v94, v6                                 // 000000004920: 0ABC0D5E
	v_mul_f32_e32 v95, v95, v7                                 // 000000004924: 0ABE0F5F
	v_mul_f32_e32 v92, v92, v140                               // 000000004928: 0AB9195C
	v_mul_f32_e32 v93, v93, v141                               // 00000000492C: 0ABB1B5D
	v_mul_f32_e32 v94, v94, v142                               // 000000004930: 0ABD1D5E
	v_mul_f32_e32 v95, v95, v143                               // 000000004934: 0ABF1F5F
	v_pk_mul_f32 v[4:5], v[96:97], v[96:97]                    // 000000004938: D3B14004 1802C160
	v_pk_mul_f32 v[6:7], v[98:99], v[98:99]                    // 000000004940: D3B14006 1802C562
	v_pk_fma_f32 v[4:5], v[4:5], s[78:79], v[8:9]              // 000000004948: D3B04004 1C209D04
	v_pk_fma_f32 v[6:7], v[6:7], s[78:79], v[8:9]              // 000000004950: D3B04006 1C209D06
	v_pk_mul_f32 v[4:5], v[4:5], v[96:97]                      // 000000004958: D3B14004 1802C104
	v_pk_mul_f32 v[6:7], v[6:7], v[98:99]                      // 000000004960: D3B14006 1802C506
	v_pk_mul_f32 v[4:5], v[4:5], s[60:61]                      // 000000004968: D3B14004 18007904
	v_pk_mul_f32 v[6:7], v[6:7], s[60:61]                      // 000000004970: D3B14006 18007906
	v_exp_f32_e32 v4, v4                                       // 000000004978: 7E084104
	v_exp_f32_e32 v5, v5                                       // 00000000497C: 7E0A4105
	v_exp_f32_e32 v6, v6                                       // 000000004980: 7E0C4106
	v_exp_f32_e32 v7, v7                                       // 000000004984: 7E0E4107
	v_add_f32_e64 v4, v4, 1.0                                  // 000000004988: D1010004 0001E504
	v_add_f32_e64 v5, v5, 1.0                                  // 000000004990: D1010005 0001E505
	v_add_f32_e64 v6, v6, 1.0                                  // 000000004998: D1010006 0001E506
	v_add_f32_e64 v7, v7, 1.0                                  // 0000000049A0: D1010007 0001E507
	v_rcp_f32_e32 v4, v4                                       // 0000000049A8: 7E084504
	v_rcp_f32_e32 v5, v5                                       // 0000000049AC: 7E0A4505
	v_rcp_f32_e32 v6, v6                                       // 0000000049B0: 7E0C4506
	v_rcp_f32_e32 v7, v7                                       // 0000000049B4: 7E0E4507
	v_mul_f32_e32 v96, v96, v4                                 // 0000000049B8: 0AC00960
	v_mul_f32_e32 v97, v97, v5                                 // 0000000049BC: 0AC20B61
	v_mul_f32_e32 v98, v98, v6                                 // 0000000049C0: 0AC40D62
	v_mul_f32_e32 v99, v99, v7                                 // 0000000049C4: 0AC60F63
	v_mul_f32_e32 v96, v96, v144                               // 0000000049C8: 0AC12160
	v_mul_f32_e32 v97, v97, v145                               // 0000000049CC: 0AC32361
	v_mul_f32_e32 v98, v98, v146                               // 0000000049D0: 0AC52562
	v_mul_f32_e32 v99, v99, v147                               // 0000000049D4: 0AC72763
	s_branch label_0977                                        // 0000000049D8: BF820180

00000000000049dc <label_07F7>:
	v_mul_f32_e64 v4, -v52, s6                                 // 0000000049DC: D1050004 20000D34
	v_mul_f32_e64 v5, -v53, s6                                 // 0000000049E4: D1050005 20000D35
	v_mul_f32_e64 v6, -v54, s6                                 // 0000000049EC: D1050006 20000D36
	v_mul_f32_e64 v7, -v55, s6                                 // 0000000049F4: D1050007 20000D37
	v_exp_f32_e32 v4, v4                                       // 0000000049FC: 7E084104
	v_exp_f32_e32 v5, v5                                       // 000000004A00: 7E0A4105
	v_exp_f32_e32 v6, v6                                       // 000000004A04: 7E0C4106
	v_exp_f32_e32 v7, v7                                       // 000000004A08: 7E0E4107
	v_add_f32_e64 v4, v4, 1.0                                  // 000000004A0C: D1010004 0001E504
	v_add_f32_e64 v5, v5, 1.0                                  // 000000004A14: D1010005 0001E505
	v_add_f32_e64 v6, v6, 1.0                                  // 000000004A1C: D1010006 0001E506
	v_add_f32_e64 v7, v7, 1.0                                  // 000000004A24: D1010007 0001E507
	v_rcp_f32_e32 v4, v4                                       // 000000004A2C: 7E084504
	v_rcp_f32_e32 v5, v5                                       // 000000004A30: 7E0A4505
	v_rcp_f32_e32 v6, v6                                       // 000000004A34: 7E0C4506
	v_rcp_f32_e32 v7, v7                                       // 000000004A38: 7E0E4507
	v_mul_f32_e32 v52, v52, v4                                 // 000000004A3C: 0A680934
	v_mul_f32_e32 v53, v53, v5                                 // 000000004A40: 0A6A0B35
	v_mul_f32_e32 v54, v54, v6                                 // 000000004A44: 0A6C0D36
	v_mul_f32_e32 v55, v55, v7                                 // 000000004A48: 0A6E0F37
	v_mul_f32_e32 v52, v52, v100                               // 000000004A4C: 0A68C934
	v_mul_f32_e32 v53, v53, v101                               // 000000004A50: 0A6ACB35
	v_mul_f32_e32 v54, v54, v102                               // 000000004A54: 0A6CCD36
	v_mul_f32_e32 v55, v55, v103                               // 000000004A58: 0A6ECF37
	v_mul_f32_e64 v4, -v56, s6                                 // 000000004A5C: D1050004 20000D38
	v_mul_f32_e64 v5, -v57, s6                                 // 000000004A64: D1050005 20000D39
	v_mul_f32_e64 v6, -v58, s6                                 // 000000004A6C: D1050006 20000D3A
	v_mul_f32_e64 v7, -v59, s6                                 // 000000004A74: D1050007 20000D3B
	v_exp_f32_e32 v4, v4                                       // 000000004A7C: 7E084104
	v_exp_f32_e32 v5, v5                                       // 000000004A80: 7E0A4105
	v_exp_f32_e32 v6, v6                                       // 000000004A84: 7E0C4106
	v_exp_f32_e32 v7, v7                                       // 000000004A88: 7E0E4107
	v_add_f32_e64 v4, v4, 1.0                                  // 000000004A8C: D1010004 0001E504
	v_add_f32_e64 v5, v5, 1.0                                  // 000000004A94: D1010005 0001E505
	v_add_f32_e64 v6, v6, 1.0                                  // 000000004A9C: D1010006 0001E506
	v_add_f32_e64 v7, v7, 1.0                                  // 000000004AA4: D1010007 0001E507
	v_rcp_f32_e32 v4, v4                                       // 000000004AAC: 7E084504
	v_rcp_f32_e32 v5, v5                                       // 000000004AB0: 7E0A4505
	v_rcp_f32_e32 v6, v6                                       // 000000004AB4: 7E0C4506
	v_rcp_f32_e32 v7, v7                                       // 000000004AB8: 7E0E4507
	v_mul_f32_e32 v56, v56, v4                                 // 000000004ABC: 0A700938
	v_mul_f32_e32 v57, v57, v5                                 // 000000004AC0: 0A720B39
	v_mul_f32_e32 v58, v58, v6                                 // 000000004AC4: 0A740D3A
	v_mul_f32_e32 v59, v59, v7                                 // 000000004AC8: 0A760F3B
	v_mul_f32_e32 v56, v56, v104                               // 000000004ACC: 0A70D138
	v_mul_f32_e32 v57, v57, v105                               // 000000004AD0: 0A72D339
	v_mul_f32_e32 v58, v58, v106                               // 000000004AD4: 0A74D53A
	v_mul_f32_e32 v59, v59, v107                               // 000000004AD8: 0A76D73B
	v_mul_f32_e64 v4, -v60, s6                                 // 000000004ADC: D1050004 20000D3C
	v_mul_f32_e64 v5, -v61, s6                                 // 000000004AE4: D1050005 20000D3D
	v_mul_f32_e64 v6, -v62, s6                                 // 000000004AEC: D1050006 20000D3E
	v_mul_f32_e64 v7, -v63, s6                                 // 000000004AF4: D1050007 20000D3F
	v_exp_f32_e32 v4, v4                                       // 000000004AFC: 7E084104
	v_exp_f32_e32 v5, v5                                       // 000000004B00: 7E0A4105
	v_exp_f32_e32 v6, v6                                       // 000000004B04: 7E0C4106
	v_exp_f32_e32 v7, v7                                       // 000000004B08: 7E0E4107
	v_add_f32_e64 v4, v4, 1.0                                  // 000000004B0C: D1010004 0001E504
	v_add_f32_e64 v5, v5, 1.0                                  // 000000004B14: D1010005 0001E505
	v_add_f32_e64 v6, v6, 1.0                                  // 000000004B1C: D1010006 0001E506
	v_add_f32_e64 v7, v7, 1.0                                  // 000000004B24: D1010007 0001E507
	v_rcp_f32_e32 v4, v4                                       // 000000004B2C: 7E084504
	v_rcp_f32_e32 v5, v5                                       // 000000004B30: 7E0A4505
	v_rcp_f32_e32 v6, v6                                       // 000000004B34: 7E0C4506
	v_rcp_f32_e32 v7, v7                                       // 000000004B38: 7E0E4507
	v_mul_f32_e32 v60, v60, v4                                 // 000000004B3C: 0A78093C
	v_mul_f32_e32 v61, v61, v5                                 // 000000004B40: 0A7A0B3D
	v_mul_f32_e32 v62, v62, v6                                 // 000000004B44: 0A7C0D3E
	v_mul_f32_e32 v63, v63, v7                                 // 000000004B48: 0A7E0F3F
	v_mul_f32_e32 v60, v60, v108                               // 000000004B4C: 0A78D93C
	v_mul_f32_e32 v61, v61, v109                               // 000000004B50: 0A7ADB3D
	v_mul_f32_e32 v62, v62, v110                               // 000000004B54: 0A7CDD3E
	v_mul_f32_e32 v63, v63, v111                               // 000000004B58: 0A7EDF3F
	v_mul_f32_e64 v4, -v64, s6                                 // 000000004B5C: D1050004 20000D40
	v_mul_f32_e64 v5, -v65, s6                                 // 000000004B64: D1050005 20000D41
	v_mul_f32_e64 v6, -v66, s6                                 // 000000004B6C: D1050006 20000D42
	v_mul_f32_e64 v7, -v67, s6                                 // 000000004B74: D1050007 20000D43
	v_exp_f32_e32 v4, v4                                       // 000000004B7C: 7E084104
	v_exp_f32_e32 v5, v5                                       // 000000004B80: 7E0A4105
	v_exp_f32_e32 v6, v6                                       // 000000004B84: 7E0C4106
	v_exp_f32_e32 v7, v7                                       // 000000004B88: 7E0E4107
	v_add_f32_e64 v4, v4, 1.0                                  // 000000004B8C: D1010004 0001E504
	v_add_f32_e64 v5, v5, 1.0                                  // 000000004B94: D1010005 0001E505
	v_add_f32_e64 v6, v6, 1.0                                  // 000000004B9C: D1010006 0001E506
	v_add_f32_e64 v7, v7, 1.0                                  // 000000004BA4: D1010007 0001E507
	v_rcp_f32_e32 v4, v4                                       // 000000004BAC: 7E084504
	v_rcp_f32_e32 v5, v5                                       // 000000004BB0: 7E0A4505
	v_rcp_f32_e32 v6, v6                                       // 000000004BB4: 7E0C4506
	v_rcp_f32_e32 v7, v7                                       // 000000004BB8: 7E0E4507
	v_mul_f32_e32 v64, v64, v4                                 // 000000004BBC: 0A800940
	v_mul_f32_e32 v65, v65, v5                                 // 000000004BC0: 0A820B41
	v_mul_f32_e32 v66, v66, v6                                 // 000000004BC4: 0A840D42
	v_mul_f32_e32 v67, v67, v7                                 // 000000004BC8: 0A860F43
	v_mul_f32_e32 v64, v64, v112                               // 000000004BCC: 0A80E140
	v_mul_f32_e32 v65, v65, v113                               // 000000004BD0: 0A82E341
	v_mul_f32_e32 v66, v66, v114                               // 000000004BD4: 0A84E542
	v_mul_f32_e32 v67, v67, v115                               // 000000004BD8: 0A86E743
	v_mul_f32_e64 v4, -v68, s6                                 // 000000004BDC: D1050004 20000D44
	v_mul_f32_e64 v5, -v69, s6                                 // 000000004BE4: D1050005 20000D45
	v_mul_f32_e64 v6, -v70, s6                                 // 000000004BEC: D1050006 20000D46
	v_mul_f32_e64 v7, -v71, s6                                 // 000000004BF4: D1050007 20000D47
	v_exp_f32_e32 v4, v4                                       // 000000004BFC: 7E084104
	v_exp_f32_e32 v5, v5                                       // 000000004C00: 7E0A4105
	v_exp_f32_e32 v6, v6                                       // 000000004C04: 7E0C4106
	v_exp_f32_e32 v7, v7                                       // 000000004C08: 7E0E4107
	v_add_f32_e64 v4, v4, 1.0                                  // 000000004C0C: D1010004 0001E504
	v_add_f32_e64 v5, v5, 1.0                                  // 000000004C14: D1010005 0001E505
	v_add_f32_e64 v6, v6, 1.0                                  // 000000004C1C: D1010006 0001E506
	v_add_f32_e64 v7, v7, 1.0                                  // 000000004C24: D1010007 0001E507
	v_rcp_f32_e32 v4, v4                                       // 000000004C2C: 7E084504
	v_rcp_f32_e32 v5, v5                                       // 000000004C30: 7E0A4505
	v_rcp_f32_e32 v6, v6                                       // 000000004C34: 7E0C4506
	v_rcp_f32_e32 v7, v7                                       // 000000004C38: 7E0E4507
	v_mul_f32_e32 v68, v68, v4                                 // 000000004C3C: 0A880944
	v_mul_f32_e32 v69, v69, v5                                 // 000000004C40: 0A8A0B45
	v_mul_f32_e32 v70, v70, v6                                 // 000000004C44: 0A8C0D46
	v_mul_f32_e32 v71, v71, v7                                 // 000000004C48: 0A8E0F47
	v_mul_f32_e32 v68, v68, v116                               // 000000004C4C: 0A88E944
	v_mul_f32_e32 v69, v69, v117                               // 000000004C50: 0A8AEB45
	v_mul_f32_e32 v70, v70, v118                               // 000000004C54: 0A8CED46
	v_mul_f32_e32 v71, v71, v119                               // 000000004C58: 0A8EEF47
	v_mul_f32_e64 v4, -v72, s6                                 // 000000004C5C: D1050004 20000D48
	v_mul_f32_e64 v5, -v73, s6                                 // 000000004C64: D1050005 20000D49
	v_mul_f32_e64 v6, -v74, s6                                 // 000000004C6C: D1050006 20000D4A
	v_mul_f32_e64 v7, -v75, s6                                 // 000000004C74: D1050007 20000D4B
	v_exp_f32_e32 v4, v4                                       // 000000004C7C: 7E084104
	v_exp_f32_e32 v5, v5                                       // 000000004C80: 7E0A4105
	v_exp_f32_e32 v6, v6                                       // 000000004C84: 7E0C4106
	v_exp_f32_e32 v7, v7                                       // 000000004C88: 7E0E4107
	v_add_f32_e64 v4, v4, 1.0                                  // 000000004C8C: D1010004 0001E504
	v_add_f32_e64 v5, v5, 1.0                                  // 000000004C94: D1010005 0001E505
	v_add_f32_e64 v6, v6, 1.0                                  // 000000004C9C: D1010006 0001E506
	v_add_f32_e64 v7, v7, 1.0                                  // 000000004CA4: D1010007 0001E507
	v_rcp_f32_e32 v4, v4                                       // 000000004CAC: 7E084504
	v_rcp_f32_e32 v5, v5                                       // 000000004CB0: 7E0A4505
	v_rcp_f32_e32 v6, v6                                       // 000000004CB4: 7E0C4506
	v_rcp_f32_e32 v7, v7                                       // 000000004CB8: 7E0E4507
	v_mul_f32_e32 v72, v72, v4                                 // 000000004CBC: 0A900948
	v_mul_f32_e32 v73, v73, v5                                 // 000000004CC0: 0A920B49
	v_mul_f32_e32 v74, v74, v6                                 // 000000004CC4: 0A940D4A
	v_mul_f32_e32 v75, v75, v7                                 // 000000004CC8: 0A960F4B
	v_mul_f32_e32 v72, v72, v120                               // 000000004CCC: 0A90F148
	v_mul_f32_e32 v73, v73, v121                               // 000000004CD0: 0A92F349
	v_mul_f32_e32 v74, v74, v122                               // 000000004CD4: 0A94F54A
	v_mul_f32_e32 v75, v75, v123                               // 000000004CD8: 0A96F74B
	v_mul_f32_e64 v4, -v76, s6                                 // 000000004CDC: D1050004 20000D4C
	v_mul_f32_e64 v5, -v77, s6                                 // 000000004CE4: D1050005 20000D4D
	v_mul_f32_e64 v6, -v78, s6                                 // 000000004CEC: D1050006 20000D4E
	v_mul_f32_e64 v7, -v79, s6                                 // 000000004CF4: D1050007 20000D4F
	v_exp_f32_e32 v4, v4                                       // 000000004CFC: 7E084104
	v_exp_f32_e32 v5, v5                                       // 000000004D00: 7E0A4105
	v_exp_f32_e32 v6, v6                                       // 000000004D04: 7E0C4106
	v_exp_f32_e32 v7, v7                                       // 000000004D08: 7E0E4107
	v_add_f32_e64 v4, v4, 1.0                                  // 000000004D0C: D1010004 0001E504
	v_add_f32_e64 v5, v5, 1.0                                  // 000000004D14: D1010005 0001E505
	v_add_f32_e64 v6, v6, 1.0                                  // 000000004D1C: D1010006 0001E506
	v_add_f32_e64 v7, v7, 1.0                                  // 000000004D24: D1010007 0001E507
	v_rcp_f32_e32 v4, v4                                       // 000000004D2C: 7E084504
	v_rcp_f32_e32 v5, v5                                       // 000000004D30: 7E0A4505
	v_rcp_f32_e32 v6, v6                                       // 000000004D34: 7E0C4506
	v_rcp_f32_e32 v7, v7                                       // 000000004D38: 7E0E4507
	v_mul_f32_e32 v76, v76, v4                                 // 000000004D3C: 0A98094C
	v_mul_f32_e32 v77, v77, v5                                 // 000000004D40: 0A9A0B4D
	v_mul_f32_e32 v78, v78, v6                                 // 000000004D44: 0A9C0D4E
	v_mul_f32_e32 v79, v79, v7                                 // 000000004D48: 0A9E0F4F
	v_mul_f32_e32 v76, v76, v124                               // 000000004D4C: 0A98F94C
	v_mul_f32_e32 v77, v77, v125                               // 000000004D50: 0A9AFB4D
	v_mul_f32_e32 v78, v78, v126                               // 000000004D54: 0A9CFD4E
	v_mul_f32_e32 v79, v79, v127                               // 000000004D58: 0A9EFF4F
	v_mul_f32_e64 v4, -v80, s6                                 // 000000004D5C: D1050004 20000D50
	v_mul_f32_e64 v5, -v81, s6                                 // 000000004D64: D1050005 20000D51
	v_mul_f32_e64 v6, -v82, s6                                 // 000000004D6C: D1050006 20000D52
	v_mul_f32_e64 v7, -v83, s6                                 // 000000004D74: D1050007 20000D53
	v_exp_f32_e32 v4, v4                                       // 000000004D7C: 7E084104
	v_exp_f32_e32 v5, v5                                       // 000000004D80: 7E0A4105
	v_exp_f32_e32 v6, v6                                       // 000000004D84: 7E0C4106
	v_exp_f32_e32 v7, v7                                       // 000000004D88: 7E0E4107
	v_add_f32_e64 v4, v4, 1.0                                  // 000000004D8C: D1010004 0001E504
	v_add_f32_e64 v5, v5, 1.0                                  // 000000004D94: D1010005 0001E505
	v_add_f32_e64 v6, v6, 1.0                                  // 000000004D9C: D1010006 0001E506
	v_add_f32_e64 v7, v7, 1.0                                  // 000000004DA4: D1010007 0001E507
	v_rcp_f32_e32 v4, v4                                       // 000000004DAC: 7E084504
	v_rcp_f32_e32 v5, v5                                       // 000000004DB0: 7E0A4505
	v_rcp_f32_e32 v6, v6                                       // 000000004DB4: 7E0C4506
	v_rcp_f32_e32 v7, v7                                       // 000000004DB8: 7E0E4507
	v_mul_f32_e32 v80, v80, v4                                 // 000000004DBC: 0AA00950
	v_mul_f32_e32 v81, v81, v5                                 // 000000004DC0: 0AA20B51
	v_mul_f32_e32 v82, v82, v6                                 // 000000004DC4: 0AA40D52
	v_mul_f32_e32 v83, v83, v7                                 // 000000004DC8: 0AA60F53
	v_mul_f32_e32 v80, v80, v128                               // 000000004DCC: 0AA10150
	v_mul_f32_e32 v81, v81, v129                               // 000000004DD0: 0AA30351
	v_mul_f32_e32 v82, v82, v130                               // 000000004DD4: 0AA50552
	v_mul_f32_e32 v83, v83, v131                               // 000000004DD8: 0AA70753
	v_mul_f32_e64 v4, -v84, s6                                 // 000000004DDC: D1050004 20000D54
	v_mul_f32_e64 v5, -v85, s6                                 // 000000004DE4: D1050005 20000D55
	v_mul_f32_e64 v6, -v86, s6                                 // 000000004DEC: D1050006 20000D56
	v_mul_f32_e64 v7, -v87, s6                                 // 000000004DF4: D1050007 20000D57
	v_exp_f32_e32 v4, v4                                       // 000000004DFC: 7E084104
	v_exp_f32_e32 v5, v5                                       // 000000004E00: 7E0A4105
	v_exp_f32_e32 v6, v6                                       // 000000004E04: 7E0C4106
	v_exp_f32_e32 v7, v7                                       // 000000004E08: 7E0E4107
	v_add_f32_e64 v4, v4, 1.0                                  // 000000004E0C: D1010004 0001E504
	v_add_f32_e64 v5, v5, 1.0                                  // 000000004E14: D1010005 0001E505
	v_add_f32_e64 v6, v6, 1.0                                  // 000000004E1C: D1010006 0001E506
	v_add_f32_e64 v7, v7, 1.0                                  // 000000004E24: D1010007 0001E507
	v_rcp_f32_e32 v4, v4                                       // 000000004E2C: 7E084504
	v_rcp_f32_e32 v5, v5                                       // 000000004E30: 7E0A4505
	v_rcp_f32_e32 v6, v6                                       // 000000004E34: 7E0C4506
	v_rcp_f32_e32 v7, v7                                       // 000000004E38: 7E0E4507
	v_mul_f32_e32 v84, v84, v4                                 // 000000004E3C: 0AA80954
	v_mul_f32_e32 v85, v85, v5                                 // 000000004E40: 0AAA0B55
	v_mul_f32_e32 v86, v86, v6                                 // 000000004E44: 0AAC0D56
	v_mul_f32_e32 v87, v87, v7                                 // 000000004E48: 0AAE0F57
	v_mul_f32_e32 v84, v84, v132                               // 000000004E4C: 0AA90954
	v_mul_f32_e32 v85, v85, v133                               // 000000004E50: 0AAB0B55
	v_mul_f32_e32 v86, v86, v134                               // 000000004E54: 0AAD0D56
	v_mul_f32_e32 v87, v87, v135                               // 000000004E58: 0AAF0F57
	v_mul_f32_e64 v4, -v88, s6                                 // 000000004E5C: D1050004 20000D58
	v_mul_f32_e64 v5, -v89, s6                                 // 000000004E64: D1050005 20000D59
	v_mul_f32_e64 v6, -v90, s6                                 // 000000004E6C: D1050006 20000D5A
	v_mul_f32_e64 v7, -v91, s6                                 // 000000004E74: D1050007 20000D5B
	v_exp_f32_e32 v4, v4                                       // 000000004E7C: 7E084104
	v_exp_f32_e32 v5, v5                                       // 000000004E80: 7E0A4105
	v_exp_f32_e32 v6, v6                                       // 000000004E84: 7E0C4106
	v_exp_f32_e32 v7, v7                                       // 000000004E88: 7E0E4107
	v_add_f32_e64 v4, v4, 1.0                                  // 000000004E8C: D1010004 0001E504
	v_add_f32_e64 v5, v5, 1.0                                  // 000000004E94: D1010005 0001E505
	v_add_f32_e64 v6, v6, 1.0                                  // 000000004E9C: D1010006 0001E506
	v_add_f32_e64 v7, v7, 1.0                                  // 000000004EA4: D1010007 0001E507
	v_rcp_f32_e32 v4, v4                                       // 000000004EAC: 7E084504
	v_rcp_f32_e32 v5, v5                                       // 000000004EB0: 7E0A4505
	v_rcp_f32_e32 v6, v6                                       // 000000004EB4: 7E0C4506
	v_rcp_f32_e32 v7, v7                                       // 000000004EB8: 7E0E4507
	v_mul_f32_e32 v88, v88, v4                                 // 000000004EBC: 0AB00958
	v_mul_f32_e32 v89, v89, v5                                 // 000000004EC0: 0AB20B59
	v_mul_f32_e32 v90, v90, v6                                 // 000000004EC4: 0AB40D5A
	v_mul_f32_e32 v91, v91, v7                                 // 000000004EC8: 0AB60F5B
	v_mul_f32_e32 v88, v88, v136                               // 000000004ECC: 0AB11158
	v_mul_f32_e32 v89, v89, v137                               // 000000004ED0: 0AB31359
	v_mul_f32_e32 v90, v90, v138                               // 000000004ED4: 0AB5155A
	v_mul_f32_e32 v91, v91, v139                               // 000000004ED8: 0AB7175B
	v_mul_f32_e64 v4, -v92, s6                                 // 000000004EDC: D1050004 20000D5C
	v_mul_f32_e64 v5, -v93, s6                                 // 000000004EE4: D1050005 20000D5D
	v_mul_f32_e64 v6, -v94, s6                                 // 000000004EEC: D1050006 20000D5E
	v_mul_f32_e64 v7, -v95, s6                                 // 000000004EF4: D1050007 20000D5F
	v_exp_f32_e32 v4, v4                                       // 000000004EFC: 7E084104
	v_exp_f32_e32 v5, v5                                       // 000000004F00: 7E0A4105
	v_exp_f32_e32 v6, v6                                       // 000000004F04: 7E0C4106
	v_exp_f32_e32 v7, v7                                       // 000000004F08: 7E0E4107
	v_add_f32_e64 v4, v4, 1.0                                  // 000000004F0C: D1010004 0001E504
	v_add_f32_e64 v5, v5, 1.0                                  // 000000004F14: D1010005 0001E505
	v_add_f32_e64 v6, v6, 1.0                                  // 000000004F1C: D1010006 0001E506
	v_add_f32_e64 v7, v7, 1.0                                  // 000000004F24: D1010007 0001E507
	v_rcp_f32_e32 v4, v4                                       // 000000004F2C: 7E084504
	v_rcp_f32_e32 v5, v5                                       // 000000004F30: 7E0A4505
	v_rcp_f32_e32 v6, v6                                       // 000000004F34: 7E0C4506
	v_rcp_f32_e32 v7, v7                                       // 000000004F38: 7E0E4507
	v_mul_f32_e32 v92, v92, v4                                 // 000000004F3C: 0AB8095C
	v_mul_f32_e32 v93, v93, v5                                 // 000000004F40: 0ABA0B5D
	v_mul_f32_e32 v94, v94, v6                                 // 000000004F44: 0ABC0D5E
	v_mul_f32_e32 v95, v95, v7                                 // 000000004F48: 0ABE0F5F
	v_mul_f32_e32 v92, v92, v140                               // 000000004F4C: 0AB9195C
	v_mul_f32_e32 v93, v93, v141                               // 000000004F50: 0ABB1B5D
	v_mul_f32_e32 v94, v94, v142                               // 000000004F54: 0ABD1D5E
	v_mul_f32_e32 v95, v95, v143                               // 000000004F58: 0ABF1F5F
	v_mul_f32_e64 v4, -v96, s6                                 // 000000004F5C: D1050004 20000D60
	v_mul_f32_e64 v5, -v97, s6                                 // 000000004F64: D1050005 20000D61
	v_mul_f32_e64 v6, -v98, s6                                 // 000000004F6C: D1050006 20000D62
	v_mul_f32_e64 v7, -v99, s6                                 // 000000004F74: D1050007 20000D63
	v_exp_f32_e32 v4, v4                                       // 000000004F7C: 7E084104
	v_exp_f32_e32 v5, v5                                       // 000000004F80: 7E0A4105
	v_exp_f32_e32 v6, v6                                       // 000000004F84: 7E0C4106
	v_exp_f32_e32 v7, v7                                       // 000000004F88: 7E0E4107
	v_add_f32_e64 v4, v4, 1.0                                  // 000000004F8C: D1010004 0001E504
	v_add_f32_e64 v5, v5, 1.0                                  // 000000004F94: D1010005 0001E505
	v_add_f32_e64 v6, v6, 1.0                                  // 000000004F9C: D1010006 0001E506
	v_add_f32_e64 v7, v7, 1.0                                  // 000000004FA4: D1010007 0001E507
	v_rcp_f32_e32 v4, v4                                       // 000000004FAC: 7E084504
	v_rcp_f32_e32 v5, v5                                       // 000000004FB0: 7E0A4505
	v_rcp_f32_e32 v6, v6                                       // 000000004FB4: 7E0C4506
	v_rcp_f32_e32 v7, v7                                       // 000000004FB8: 7E0E4507
	v_mul_f32_e32 v96, v96, v4                                 // 000000004FBC: 0AC00960
	v_mul_f32_e32 v97, v97, v5                                 // 000000004FC0: 0AC20B61
	v_mul_f32_e32 v98, v98, v6                                 // 000000004FC4: 0AC40D62
	v_mul_f32_e32 v99, v99, v7                                 // 000000004FC8: 0AC60F63
	v_mul_f32_e32 v96, v96, v144                               // 000000004FCC: 0AC12160
	v_mul_f32_e32 v97, v97, v145                               // 000000004FD0: 0AC32361
	v_mul_f32_e32 v98, v98, v146                               // 000000004FD4: 0AC52562
	v_mul_f32_e32 v99, v99, v147                               // 000000004FD8: 0AC72763

0000000000004fdc <label_0977>:
	v_cmp_u_f32_e64 s[46:47], v52, v52                         // 000000004FDC: D048002E 00026934
	v_add3_u32 v16, v52, v19, 1                                // 000000004FE4: D1FF0010 02062734
	v_cndmask_b32_e64 v4, v16, v18, s[46:47]                   // 000000004FEC: D1000004 00BA2510
	v_cmp_u_f32_e64 s[46:47], v53, v53                         // 000000004FF4: D048002E 00026B35
	v_add3_u32 v16, v53, v19, 1                                // 000000004FFC: D1FF0010 02062735
	v_cndmask_b32_e64 v5, v16, v18, s[46:47]                   // 000000005004: D1000005 00BA2510
	v_perm_b32 v52, v5, v4, s52                                // 00000000500C: D1ED0034 00D20905
	v_cmp_u_f32_e64 s[46:47], v54, v54                         // 000000005014: D048002E 00026D36
	v_add3_u32 v16, v54, v19, 1                                // 00000000501C: D1FF0010 02062736
	v_cndmask_b32_e64 v4, v16, v18, s[46:47]                   // 000000005024: D1000004 00BA2510
	v_cmp_u_f32_e64 s[46:47], v55, v55                         // 00000000502C: D048002E 00026F37
	v_add3_u32 v16, v55, v19, 1                                // 000000005034: D1FF0010 02062737
	v_cndmask_b32_e64 v5, v16, v18, s[46:47]                   // 00000000503C: D1000005 00BA2510
	v_perm_b32 v53, v5, v4, s52                                // 000000005044: D1ED0035 00D20905
	v_cmp_u_f32_e64 s[46:47], v56, v56                         // 00000000504C: D048002E 00027138
	v_add3_u32 v16, v56, v19, 1                                // 000000005054: D1FF0010 02062738
	v_cndmask_b32_e64 v4, v16, v18, s[46:47]                   // 00000000505C: D1000004 00BA2510
	v_cmp_u_f32_e64 s[46:47], v57, v57                         // 000000005064: D048002E 00027339
	v_add3_u32 v16, v57, v19, 1                                // 00000000506C: D1FF0010 02062739
	v_cndmask_b32_e64 v5, v16, v18, s[46:47]                   // 000000005074: D1000005 00BA2510
	v_perm_b32 v54, v5, v4, s52                                // 00000000507C: D1ED0036 00D20905
	v_cmp_u_f32_e64 s[46:47], v58, v58                         // 000000005084: D048002E 0002753A
	v_add3_u32 v16, v58, v19, 1                                // 00000000508C: D1FF0010 0206273A
	v_cndmask_b32_e64 v4, v16, v18, s[46:47]                   // 000000005094: D1000004 00BA2510
	v_cmp_u_f32_e64 s[46:47], v59, v59                         // 00000000509C: D048002E 0002773B
	v_add3_u32 v16, v59, v19, 1                                // 0000000050A4: D1FF0010 0206273B
	v_cndmask_b32_e64 v5, v16, v18, s[46:47]                   // 0000000050AC: D1000005 00BA2510
	v_perm_b32 v55, v5, v4, s52                                // 0000000050B4: D1ED0037 00D20905
	v_cmp_u_f32_e64 s[46:47], v60, v60                         // 0000000050BC: D048002E 0002793C
	v_add3_u32 v16, v60, v19, 1                                // 0000000050C4: D1FF0010 0206273C
	v_cndmask_b32_e64 v4, v16, v18, s[46:47]                   // 0000000050CC: D1000004 00BA2510
	v_cmp_u_f32_e64 s[46:47], v61, v61                         // 0000000050D4: D048002E 00027B3D
	v_add3_u32 v16, v61, v19, 1                                // 0000000050DC: D1FF0010 0206273D
	v_cndmask_b32_e64 v5, v16, v18, s[46:47]                   // 0000000050E4: D1000005 00BA2510
	v_perm_b32 v56, v5, v4, s52                                // 0000000050EC: D1ED0038 00D20905
	v_cmp_u_f32_e64 s[46:47], v62, v62                         // 0000000050F4: D048002E 00027D3E
	v_add3_u32 v16, v62, v19, 1                                // 0000000050FC: D1FF0010 0206273E
	v_cndmask_b32_e64 v4, v16, v18, s[46:47]                   // 000000005104: D1000004 00BA2510
	v_cmp_u_f32_e64 s[46:47], v63, v63                         // 00000000510C: D048002E 00027F3F
	v_add3_u32 v16, v63, v19, 1                                // 000000005114: D1FF0010 0206273F
	v_cndmask_b32_e64 v5, v16, v18, s[46:47]                   // 00000000511C: D1000005 00BA2510
	v_perm_b32 v57, v5, v4, s52                                // 000000005124: D1ED0039 00D20905
	v_cmp_u_f32_e64 s[46:47], v64, v64                         // 00000000512C: D048002E 00028140
	v_add3_u32 v16, v64, v19, 1                                // 000000005134: D1FF0010 02062740
	v_cndmask_b32_e64 v4, v16, v18, s[46:47]                   // 00000000513C: D1000004 00BA2510
	v_cmp_u_f32_e64 s[46:47], v65, v65                         // 000000005144: D048002E 00028341
	v_add3_u32 v16, v65, v19, 1                                // 00000000514C: D1FF0010 02062741
	v_cndmask_b32_e64 v5, v16, v18, s[46:47]                   // 000000005154: D1000005 00BA2510
	v_perm_b32 v58, v5, v4, s52                                // 00000000515C: D1ED003A 00D20905
	v_cmp_u_f32_e64 s[46:47], v66, v66                         // 000000005164: D048002E 00028542
	v_add3_u32 v16, v66, v19, 1                                // 00000000516C: D1FF0010 02062742
	v_cndmask_b32_e64 v4, v16, v18, s[46:47]                   // 000000005174: D1000004 00BA2510
	v_cmp_u_f32_e64 s[46:47], v67, v67                         // 00000000517C: D048002E 00028743
	v_add3_u32 v16, v67, v19, 1                                // 000000005184: D1FF0010 02062743
	v_cndmask_b32_e64 v5, v16, v18, s[46:47]                   // 00000000518C: D1000005 00BA2510
	v_perm_b32 v59, v5, v4, s52                                // 000000005194: D1ED003B 00D20905
	v_cmp_u_f32_e64 s[46:47], v68, v68                         // 00000000519C: D048002E 00028944
	v_add3_u32 v16, v68, v19, 1                                // 0000000051A4: D1FF0010 02062744
	v_cndmask_b32_e64 v4, v16, v18, s[46:47]                   // 0000000051AC: D1000004 00BA2510
	v_cmp_u_f32_e64 s[46:47], v69, v69                         // 0000000051B4: D048002E 00028B45
	v_add3_u32 v16, v69, v19, 1                                // 0000000051BC: D1FF0010 02062745
	v_cndmask_b32_e64 v5, v16, v18, s[46:47]                   // 0000000051C4: D1000005 00BA2510
	v_perm_b32 v60, v5, v4, s52                                // 0000000051CC: D1ED003C 00D20905
	v_cmp_u_f32_e64 s[46:47], v70, v70                         // 0000000051D4: D048002E 00028D46
	v_add3_u32 v16, v70, v19, 1                                // 0000000051DC: D1FF0010 02062746
	v_cndmask_b32_e64 v4, v16, v18, s[46:47]                   // 0000000051E4: D1000004 00BA2510
	v_cmp_u_f32_e64 s[46:47], v71, v71                         // 0000000051EC: D048002E 00028F47
	v_add3_u32 v16, v71, v19, 1                                // 0000000051F4: D1FF0010 02062747
	v_cndmask_b32_e64 v5, v16, v18, s[46:47]                   // 0000000051FC: D1000005 00BA2510
	v_perm_b32 v61, v5, v4, s52                                // 000000005204: D1ED003D 00D20905
	v_cmp_u_f32_e64 s[46:47], v72, v72                         // 00000000520C: D048002E 00029148
	v_add3_u32 v16, v72, v19, 1                                // 000000005214: D1FF0010 02062748
	v_cndmask_b32_e64 v4, v16, v18, s[46:47]                   // 00000000521C: D1000004 00BA2510
	v_cmp_u_f32_e64 s[46:47], v73, v73                         // 000000005224: D048002E 00029349
	v_add3_u32 v16, v73, v19, 1                                // 00000000522C: D1FF0010 02062749
	v_cndmask_b32_e64 v5, v16, v18, s[46:47]                   // 000000005234: D1000005 00BA2510
	v_perm_b32 v62, v5, v4, s52                                // 00000000523C: D1ED003E 00D20905
	v_cmp_u_f32_e64 s[46:47], v74, v74                         // 000000005244: D048002E 0002954A
	v_add3_u32 v16, v74, v19, 1                                // 00000000524C: D1FF0010 0206274A
	v_cndmask_b32_e64 v4, v16, v18, s[46:47]                   // 000000005254: D1000004 00BA2510
	v_cmp_u_f32_e64 s[46:47], v75, v75                         // 00000000525C: D048002E 0002974B
	v_add3_u32 v16, v75, v19, 1                                // 000000005264: D1FF0010 0206274B
	v_cndmask_b32_e64 v5, v16, v18, s[46:47]                   // 00000000526C: D1000005 00BA2510
	v_perm_b32 v63, v5, v4, s52                                // 000000005274: D1ED003F 00D20905
	v_cmp_u_f32_e64 s[46:47], v76, v76                         // 00000000527C: D048002E 0002994C
	v_add3_u32 v16, v76, v19, 1                                // 000000005284: D1FF0010 0206274C
	v_cndmask_b32_e64 v4, v16, v18, s[46:47]                   // 00000000528C: D1000004 00BA2510
	v_cmp_u_f32_e64 s[46:47], v77, v77                         // 000000005294: D048002E 00029B4D
	v_add3_u32 v16, v77, v19, 1                                // 00000000529C: D1FF0010 0206274D
	v_cndmask_b32_e64 v5, v16, v18, s[46:47]                   // 0000000052A4: D1000005 00BA2510
	v_perm_b32 v64, v5, v4, s52                                // 0000000052AC: D1ED0040 00D20905
	v_cmp_u_f32_e64 s[46:47], v78, v78                         // 0000000052B4: D048002E 00029D4E
	v_add3_u32 v16, v78, v19, 1                                // 0000000052BC: D1FF0010 0206274E
	v_cndmask_b32_e64 v4, v16, v18, s[46:47]                   // 0000000052C4: D1000004 00BA2510
	v_cmp_u_f32_e64 s[46:47], v79, v79                         // 0000000052CC: D048002E 00029F4F
	v_add3_u32 v16, v79, v19, 1                                // 0000000052D4: D1FF0010 0206274F
	v_cndmask_b32_e64 v5, v16, v18, s[46:47]                   // 0000000052DC: D1000005 00BA2510
	v_perm_b32 v65, v5, v4, s52                                // 0000000052E4: D1ED0041 00D20905
	v_cmp_u_f32_e64 s[46:47], v80, v80                         // 0000000052EC: D048002E 0002A150
	v_add3_u32 v16, v80, v19, 1                                // 0000000052F4: D1FF0010 02062750
	v_cndmask_b32_e64 v4, v16, v18, s[46:47]                   // 0000000052FC: D1000004 00BA2510
	v_cmp_u_f32_e64 s[46:47], v81, v81                         // 000000005304: D048002E 0002A351
	v_add3_u32 v16, v81, v19, 1                                // 00000000530C: D1FF0010 02062751
	v_cndmask_b32_e64 v5, v16, v18, s[46:47]                   // 000000005314: D1000005 00BA2510
	v_perm_b32 v66, v5, v4, s52                                // 00000000531C: D1ED0042 00D20905
	v_cmp_u_f32_e64 s[46:47], v82, v82                         // 000000005324: D048002E 0002A552
	v_add3_u32 v16, v82, v19, 1                                // 00000000532C: D1FF0010 02062752
	v_cndmask_b32_e64 v4, v16, v18, s[46:47]                   // 000000005334: D1000004 00BA2510
	v_cmp_u_f32_e64 s[46:47], v83, v83                         // 00000000533C: D048002E 0002A753
	v_add3_u32 v16, v83, v19, 1                                // 000000005344: D1FF0010 02062753
	v_cndmask_b32_e64 v5, v16, v18, s[46:47]                   // 00000000534C: D1000005 00BA2510
	v_perm_b32 v67, v5, v4, s52                                // 000000005354: D1ED0043 00D20905
	v_cmp_u_f32_e64 s[46:47], v84, v84                         // 00000000535C: D048002E 0002A954
	v_add3_u32 v16, v84, v19, 1                                // 000000005364: D1FF0010 02062754
	v_cndmask_b32_e64 v4, v16, v18, s[46:47]                   // 00000000536C: D1000004 00BA2510
	v_cmp_u_f32_e64 s[46:47], v85, v85                         // 000000005374: D048002E 0002AB55
	v_add3_u32 v16, v85, v19, 1                                // 00000000537C: D1FF0010 02062755
	v_cndmask_b32_e64 v5, v16, v18, s[46:47]                   // 000000005384: D1000005 00BA2510
	v_perm_b32 v68, v5, v4, s52                                // 00000000538C: D1ED0044 00D20905
	v_cmp_u_f32_e64 s[46:47], v86, v86                         // 000000005394: D048002E 0002AD56
	v_add3_u32 v16, v86, v19, 1                                // 00000000539C: D1FF0010 02062756
	v_cndmask_b32_e64 v4, v16, v18, s[46:47]                   // 0000000053A4: D1000004 00BA2510
	v_cmp_u_f32_e64 s[46:47], v87, v87                         // 0000000053AC: D048002E 0002AF57
	v_add3_u32 v16, v87, v19, 1                                // 0000000053B4: D1FF0010 02062757
	v_cndmask_b32_e64 v5, v16, v18, s[46:47]                   // 0000000053BC: D1000005 00BA2510
	v_perm_b32 v69, v5, v4, s52                                // 0000000053C4: D1ED0045 00D20905
	v_cmp_u_f32_e64 s[46:47], v88, v88                         // 0000000053CC: D048002E 0002B158
	v_add3_u32 v16, v88, v19, 1                                // 0000000053D4: D1FF0010 02062758
	v_cndmask_b32_e64 v4, v16, v18, s[46:47]                   // 0000000053DC: D1000004 00BA2510
	v_cmp_u_f32_e64 s[46:47], v89, v89                         // 0000000053E4: D048002E 0002B359
	v_add3_u32 v16, v89, v19, 1                                // 0000000053EC: D1FF0010 02062759
	v_cndmask_b32_e64 v5, v16, v18, s[46:47]                   // 0000000053F4: D1000005 00BA2510
	v_perm_b32 v70, v5, v4, s52                                // 0000000053FC: D1ED0046 00D20905
	v_cmp_u_f32_e64 s[46:47], v90, v90                         // 000000005404: D048002E 0002B55A
	v_add3_u32 v16, v90, v19, 1                                // 00000000540C: D1FF0010 0206275A
	v_cndmask_b32_e64 v4, v16, v18, s[46:47]                   // 000000005414: D1000004 00BA2510
	v_cmp_u_f32_e64 s[46:47], v91, v91                         // 00000000541C: D048002E 0002B75B
	v_add3_u32 v16, v91, v19, 1                                // 000000005424: D1FF0010 0206275B
	v_cndmask_b32_e64 v5, v16, v18, s[46:47]                   // 00000000542C: D1000005 00BA2510
	v_perm_b32 v71, v5, v4, s52                                // 000000005434: D1ED0047 00D20905
	v_cmp_u_f32_e64 s[46:47], v92, v92                         // 00000000543C: D048002E 0002B95C
	v_add3_u32 v16, v92, v19, 1                                // 000000005444: D1FF0010 0206275C
	v_cndmask_b32_e64 v4, v16, v18, s[46:47]                   // 00000000544C: D1000004 00BA2510
	v_cmp_u_f32_e64 s[46:47], v93, v93                         // 000000005454: D048002E 0002BB5D
	v_add3_u32 v16, v93, v19, 1                                // 00000000545C: D1FF0010 0206275D
	v_cndmask_b32_e64 v5, v16, v18, s[46:47]                   // 000000005464: D1000005 00BA2510
	v_perm_b32 v72, v5, v4, s52                                // 00000000546C: D1ED0048 00D20905
	v_cmp_u_f32_e64 s[46:47], v94, v94                         // 000000005474: D048002E 0002BD5E
	v_add3_u32 v16, v94, v19, 1                                // 00000000547C: D1FF0010 0206275E
	v_cndmask_b32_e64 v4, v16, v18, s[46:47]                   // 000000005484: D1000004 00BA2510
	v_cmp_u_f32_e64 s[46:47], v95, v95                         // 00000000548C: D048002E 0002BF5F
	v_add3_u32 v16, v95, v19, 1                                // 000000005494: D1FF0010 0206275F
	v_cndmask_b32_e64 v5, v16, v18, s[46:47]                   // 00000000549C: D1000005 00BA2510
	v_perm_b32 v73, v5, v4, s52                                // 0000000054A4: D1ED0049 00D20905
	v_cmp_u_f32_e64 s[46:47], v96, v96                         // 0000000054AC: D048002E 0002C160
	v_add3_u32 v16, v96, v19, 1                                // 0000000054B4: D1FF0010 02062760
	v_cndmask_b32_e64 v4, v16, v18, s[46:47]                   // 0000000054BC: D1000004 00BA2510
	v_cmp_u_f32_e64 s[46:47], v97, v97                         // 0000000054C4: D048002E 0002C361
	v_add3_u32 v16, v97, v19, 1                                // 0000000054CC: D1FF0010 02062761
	v_cndmask_b32_e64 v5, v16, v18, s[46:47]                   // 0000000054D4: D1000005 00BA2510
	v_perm_b32 v74, v5, v4, s52                                // 0000000054DC: D1ED004A 00D20905
	v_cmp_u_f32_e64 s[46:47], v98, v98                         // 0000000054E4: D048002E 0002C562
	v_add3_u32 v16, v98, v19, 1                                // 0000000054EC: D1FF0010 02062762
	v_cndmask_b32_e64 v4, v16, v18, s[46:47]                   // 0000000054F4: D1000004 00BA2510
	v_cmp_u_f32_e64 s[46:47], v99, v99                         // 0000000054FC: D048002E 0002C763
	v_add3_u32 v16, v99, v19, 1                                // 000000005504: D1FF0010 02062763
	v_cndmask_b32_e64 v5, v16, v18, s[46:47]                   // 00000000550C: D1000005 00BA2510
	v_perm_b32 v75, v5, v4, s52                                // 000000005514: D1ED004B 00D20905
	ds_write_b64 v20, v[52:53]                                 // 00000000551C: D89A0000 00003414
	ds_write_b64 v20, v[54:55] offset:8704                     // 000000005524: D89A2200 00003614
	ds_write_b64 v20, v[56:57] offset:17408                    // 00000000552C: D89A4400 00003814
	ds_write_b64 v20, v[58:59] offset:2176                     // 000000005534: D89A0880 00003A14
	ds_write_b64 v20, v[60:61] offset:10880                    // 00000000553C: D89A2A80 00003C14
	ds_write_b64 v20, v[62:63] offset:19584                    // 000000005544: D89A4C80 00003E14
	ds_write_b64 v20, v[64:65] offset:4352                     // 00000000554C: D89A1100 00004014
	ds_write_b64 v20, v[66:67] offset:13056                    // 000000005554: D89A3300 00004214
	ds_write_b64 v20, v[68:69] offset:21760                    // 00000000555C: D89A5500 00004414
	ds_write_b64 v20, v[70:71] offset:6528                     // 000000005564: D89A1980 00004614
	ds_write_b64 v20, v[72:73] offset:15232                    // 00000000556C: D89A3B80 00004814
	ds_write_b64 v20, v[74:75] offset:23936                    // 000000005574: D89A5D80 00004A14
	v_lshrrev_b32_e32 v4, 5, v0                                // 00000000557C: 20080085
	v_xor_b32_e32 v5, 1, v4                                    // 000000005580: 2A0A0881
	s_mul_i32 s60, s65, 2                                      // 000000005584: 923C8241
	s_cmp_eq_u32 s88, 0                                        // 000000005588: BF068058
	s_cselect_b32 s61, 1, 4                                    // 00000000558C: 853D8481
	s_mul_i32 s60, s61, s60                                    // 000000005590: 923C3C3D
	v_readlane_b32 s82, v3, 0                                  // 000000005594: D2890052 00010103
	s_lshr_b32 s61, s82, 24                                    // 00000000559C: 8F3D9852
	s_and_b32 s82, s82, 0xffffff                               // 0000000055A0: 8652FF52 00FFFFFF
	s_mul_i32 s82, s82, s71                                    // 0000000055A8: 92524752
	s_mul_i32 s61, s60, s61                                    // 0000000055AC: 923D3D3C
	s_add_u32 s82, s82, s61                                    // 0000000055B0: 80523D52
	v_mul_lo_u32 v6, v5, s82                                   // 0000000055B4: D2850006 0000A505
	v_readlane_b32 s82, v3, 1                                  // 0000000055BC: D2890052 00010303
	s_lshr_b32 s61, s82, 24                                    // 0000000055C4: 8F3D9852
	s_and_b32 s82, s82, 0xffffff                               // 0000000055C8: 8652FF52 00FFFFFF
	s_mul_i32 s82, s82, s71                                    // 0000000055D0: 92524752
	s_mul_i32 s61, s60, s61                                    // 0000000055D4: 923D3D3C
	s_add_u32 s82, s82, s61                                    // 0000000055D8: 80523D52
	v_mul_lo_u32 v7, v4, s82                                   // 0000000055DC: D2850007 0000A504
	v_add_u32_e32 v40, v6, v7                                  // 0000000055E4: 68500F06
	v_readlane_b32 s82, v3, 2                                  // 0000000055E8: D2890052 00010503
	s_lshr_b32 s61, s82, 24                                    // 0000000055F0: 8F3D9852
	s_and_b32 s82, s82, 0xffffff                               // 0000000055F4: 8652FF52 00FFFFFF
	s_mul_i32 s82, s82, s71                                    // 0000000055FC: 92524752
	s_mul_i32 s61, s60, s61                                    // 000000005600: 923D3D3C
	s_add_u32 s82, s82, s61                                    // 000000005604: 80523D52
	v_mul_lo_u32 v6, v5, s82                                   // 000000005608: D2850006 0000A505
	v_readlane_b32 s82, v3, 3                                  // 000000005610: D2890052 00010703
	s_lshr_b32 s61, s82, 24                                    // 000000005618: 8F3D9852
	s_and_b32 s82, s82, 0xffffff                               // 00000000561C: 8652FF52 00FFFFFF
	s_mul_i32 s82, s82, s71                                    // 000000005624: 92524752
	s_mul_i32 s61, s60, s61                                    // 000000005628: 923D3D3C
	s_add_u32 s82, s82, s61                                    // 00000000562C: 80523D52
	v_mul_lo_u32 v7, v4, s82                                   // 000000005630: D2850007 0000A504
	v_add_u32_e32 v41, v6, v7                                  // 000000005638: 68520F06
	v_readlane_b32 s82, v3, 4                                  // 00000000563C: D2890052 00010903
	s_lshr_b32 s61, s82, 24                                    // 000000005644: 8F3D9852
	s_and_b32 s82, s82, 0xffffff                               // 000000005648: 8652FF52 00FFFFFF
	s_mul_i32 s82, s82, s71                                    // 000000005650: 92524752
	s_mul_i32 s61, s60, s61                                    // 000000005654: 923D3D3C
	s_add_u32 s82, s82, s61                                    // 000000005658: 80523D52
	v_mul_lo_u32 v6, v5, s82                                   // 00000000565C: D2850006 0000A505
	v_readlane_b32 s82, v3, 5                                  // 000000005664: D2890052 00010B03
	s_lshr_b32 s61, s82, 24                                    // 00000000566C: 8F3D9852
	s_and_b32 s82, s82, 0xffffff                               // 000000005670: 8652FF52 00FFFFFF
	s_mul_i32 s82, s82, s71                                    // 000000005678: 92524752
	s_mul_i32 s61, s60, s61                                    // 00000000567C: 923D3D3C
	s_add_u32 s82, s82, s61                                    // 000000005680: 80523D52
	v_mul_lo_u32 v7, v4, s82                                   // 000000005684: D2850007 0000A504
	v_add_u32_e32 v42, v6, v7                                  // 00000000568C: 68540F06
	v_readlane_b32 s82, v3, 6                                  // 000000005690: D2890052 00010D03
	s_lshr_b32 s61, s82, 24                                    // 000000005698: 8F3D9852
	s_and_b32 s82, s82, 0xffffff                               // 00000000569C: 8652FF52 00FFFFFF
	s_mul_i32 s82, s82, s71                                    // 0000000056A4: 92524752
	s_mul_i32 s61, s60, s61                                    // 0000000056A8: 923D3D3C
	s_add_u32 s82, s82, s61                                    // 0000000056AC: 80523D52
	v_mul_lo_u32 v6, v5, s82                                   // 0000000056B0: D2850006 0000A505
	v_readlane_b32 s82, v3, 7                                  // 0000000056B8: D2890052 00010F03
	s_lshr_b32 s61, s82, 24                                    // 0000000056C0: 8F3D9852
	s_and_b32 s82, s82, 0xffffff                               // 0000000056C4: 8652FF52 00FFFFFF
	s_mul_i32 s82, s82, s71                                    // 0000000056CC: 92524752
	s_mul_i32 s61, s60, s61                                    // 0000000056D0: 923D3D3C
	s_add_u32 s82, s82, s61                                    // 0000000056D4: 80523D52
	v_mul_lo_u32 v7, v4, s82                                   // 0000000056D8: D2850007 0000A504
	v_add_u32_e32 v43, v6, v7                                  // 0000000056E0: 68560F06
	v_readlane_b32 s82, v3, 8                                  // 0000000056E4: D2890052 00011103
	s_lshr_b32 s61, s82, 24                                    // 0000000056EC: 8F3D9852
	s_and_b32 s82, s82, 0xffffff                               // 0000000056F0: 8652FF52 00FFFFFF
	s_mul_i32 s82, s82, s71                                    // 0000000056F8: 92524752
	s_mul_i32 s61, s60, s61                                    // 0000000056FC: 923D3D3C
	s_add_u32 s82, s82, s61                                    // 000000005700: 80523D52
	v_mul_lo_u32 v6, v5, s82                                   // 000000005704: D2850006 0000A505
	v_readlane_b32 s82, v3, 9                                  // 00000000570C: D2890052 00011303
	s_lshr_b32 s61, s82, 24                                    // 000000005714: 8F3D9852
	s_and_b32 s82, s82, 0xffffff                               // 000000005718: 8652FF52 00FFFFFF
	s_mul_i32 s82, s82, s71                                    // 000000005720: 92524752
	s_mul_i32 s61, s60, s61                                    // 000000005724: 923D3D3C
	s_add_u32 s82, s82, s61                                    // 000000005728: 80523D52
	v_mul_lo_u32 v7, v4, s82                                   // 00000000572C: D2850007 0000A504
	v_add_u32_e32 v44, v6, v7                                  // 000000005734: 68580F06
	v_readlane_b32 s82, v3, 10                                 // 000000005738: D2890052 00011503
	s_lshr_b32 s61, s82, 24                                    // 000000005740: 8F3D9852
	s_and_b32 s82, s82, 0xffffff                               // 000000005744: 8652FF52 00FFFFFF
	s_mul_i32 s82, s82, s71                                    // 00000000574C: 92524752
	s_mul_i32 s61, s60, s61                                    // 000000005750: 923D3D3C
	s_add_u32 s82, s82, s61                                    // 000000005754: 80523D52
	v_mul_lo_u32 v6, v5, s82                                   // 000000005758: D2850006 0000A505
	v_readlane_b32 s82, v3, 11                                 // 000000005760: D2890052 00011703
	s_lshr_b32 s61, s82, 24                                    // 000000005768: 8F3D9852
	s_and_b32 s82, s82, 0xffffff                               // 00000000576C: 8652FF52 00FFFFFF
	s_mul_i32 s82, s82, s71                                    // 000000005774: 92524752
	s_mul_i32 s61, s60, s61                                    // 000000005778: 923D3D3C
	s_add_u32 s82, s82, s61                                    // 00000000577C: 80523D52
	v_mul_lo_u32 v7, v4, s82                                   // 000000005780: D2850007 0000A504
	v_add_u32_e32 v45, v6, v7                                  // 000000005788: 685A0F06
	v_and_b32_e32 v4, 31, v0                                   // 00000000578C: 2608009F
	v_lshrrev_b32_e32 v4, 1, v4                                // 000000005790: 20080881
	s_cmp_eq_u32 s88, 0                                        // 000000005794: BF068058
	s_cselect_b32 s61, 2, 4                                    // 000000005798: 853D8482
	v_mul_lo_u32 v4, v4, s61                                   // 00000000579C: D2850004 00007B04
	v_and_b32_e64 v5, v0, 1                                    // 0000000057A4: D1130005 00010300
	v_add_u32_e32 v4, v4, v5                                   // 0000000057AC: 68080B04
	v_lshlrev_b32_e32 v4, 2, v4                                // 0000000057B0: 24080882
	v_add_u32_e32 v40, v40, v4                                 // 0000000057B4: 68500928
	v_add_u32_e32 v41, v41, v4                                 // 0000000057B8: 68520929
	v_add_u32_e32 v42, v42, v4                                 // 0000000057BC: 6854092A
	v_add_u32_e32 v43, v43, v4                                 // 0000000057C0: 6856092B
	v_add_u32_e32 v44, v44, v4                                 // 0000000057C4: 6858092C
	v_add_u32_e32 v45, v45, v4                                 // 0000000057C8: 685A092D
	s_waitcnt lgkmcnt(0)                                       // 0000000057CC: BF8CC07F
	s_barrier                                                  // 0000000057D0: BF8A0000
	ds_read_b32 v52, v21                                       // 0000000057D4: D86C0000 34000015
	ds_read_b32 v53, v21 offset:64                             // 0000000057DC: D86C0040 35000015
	ds_read_b32 v54, v21 offset:2176                           // 0000000057E4: D86C0880 36000015
	ds_read_b32 v55, v21 offset:2240                           // 0000000057EC: D86C08C0 37000015
	ds_read_b32 v56, v21 offset:4352                           // 0000000057F4: D86C1100 38000015
	ds_read_b32 v57, v21 offset:4416                           // 0000000057FC: D86C1140 39000015
	ds_read_b32 v58, v21 offset:6528                           // 000000005804: D86C1980 3A000015
	ds_read_b32 v59, v21 offset:6592                           // 00000000580C: D86C19C0 3B000015
	ds_read_b32 v60, v21 offset:8704                           // 000000005814: D86C2200 3C000015
	ds_read_b32 v61, v21 offset:8768                           // 00000000581C: D86C2240 3D000015
	ds_read_b32 v62, v21 offset:10880                          // 000000005824: D86C2A80 3E000015
	ds_read_b32 v63, v21 offset:10944                          // 00000000582C: D86C2AC0 3F000015
	ds_read_b32 v64, v21 offset:13056                          // 000000005834: D86C3300 40000015
	ds_read_b32 v65, v21 offset:13120                          // 00000000583C: D86C3340 41000015
	ds_read_b32 v66, v21 offset:15232                          // 000000005844: D86C3B80 42000015
	ds_read_b32 v67, v21 offset:15296                          // 00000000584C: D86C3BC0 43000015
	ds_read_b32 v68, v21 offset:17408                          // 000000005854: D86C4400 44000015
	ds_read_b32 v69, v21 offset:17472                          // 00000000585C: D86C4440 45000015
	ds_read_b32 v70, v21 offset:19584                          // 000000005864: D86C4C80 46000015
	ds_read_b32 v71, v21 offset:19648                          // 00000000586C: D86C4CC0 47000015
	ds_read_b32 v72, v21 offset:21760                          // 000000005874: D86C5500 48000015
	ds_read_b32 v73, v21 offset:21824                          // 00000000587C: D86C5540 49000015
	ds_read_b32 v74, v21 offset:23936                          // 000000005884: D86C5D80 4A000015
	ds_read_b32 v75, v21 offset:24000                          // 00000000588C: D86C5DC0 4B000015
	s_waitcnt lgkmcnt(0)                                       // 000000005894: BF8CC07F
	s_mov_b32 s36, -1                                          // 000000005898: BEA400C1
	s_mov_b32 s37, -1                                          // 00000000589C: BEA500C1
	v_mov_b32_e32 v7, 0                                        // 0000000058A0: 7E0E0280
	s_or_b32 s9, s9, 0x40000                                   // 0000000058A4: 8709FF09 00040000
	s_mov_b64 exec, s[36:37]                                   // 0000000058AC: BEFE0124
	v_mov_b32_e32 v6, v40                                      // 0000000058B0: 7E0C0328
	s_mov_b64 s[60:61], 0                                      // 0000000058B4: BEBC0180
	v_readlane_b32 s82, v3, 0                                  // 0000000058B8: D2890052 00010103
	s_and_b32 s82, s82, 0xffffff                               // 0000000058C0: 8652FF52 00FFFFFF
	s_cmp_lt_u32 s82, s66                                      // 0000000058C8: BF0A4252
	s_cselect_b32 s20, s36, s60                                // 0000000058CC: 85143C24
	v_readlane_b32 s82, v3, 1                                  // 0000000058D0: D2890052 00010303
	s_and_b32 s82, s82, 0xffffff                               // 0000000058D8: 8652FF52 00FFFFFF
	s_cmp_lt_u32 s82, s66                                      // 0000000058E0: BF0A4252
	s_cselect_b32 s21, s36, s60                                // 0000000058E4: 85153C24
	s_mov_b64 exec, s[20:21]                                   // 0000000058E8: BEFE0114
	buffer_store_dword v52, v6, s[8:11], 0 offen               // 0000000058EC: E0701000 80023406
	buffer_store_dword v54, v6, s[8:11], 0 offen offset:128    // 0000000058F4: E0701080 80023606
	buffer_store_dword v56, v6, s[8:11], 0 offen offset:256    // 0000000058FC: E0701100 80023806
	buffer_store_dword v58, v6, s[8:11], 0 offen offset:384    // 000000005904: E0701180 80023A06
	s_mov_b64 exec, s[36:37]                                   // 00000000590C: BEFE0124
	v_mov_b32_e32 v6, v41                                      // 000000005910: 7E0C0329
	s_mov_b64 s[60:61], 0                                      // 000000005914: BEBC0180
	v_readlane_b32 s82, v3, 2                                  // 000000005918: D2890052 00010503
	s_and_b32 s82, s82, 0xffffff                               // 000000005920: 8652FF52 00FFFFFF
	s_cmp_lt_u32 s82, s66                                      // 000000005928: BF0A4252
	s_cselect_b32 s20, s36, s60                                // 00000000592C: 85143C24
	v_readlane_b32 s82, v3, 3                                  // 000000005930: D2890052 00010703
	s_and_b32 s82, s82, 0xffffff                               // 000000005938: 8652FF52 00FFFFFF
	s_cmp_lt_u32 s82, s66                                      // 000000005940: BF0A4252
	s_cselect_b32 s21, s36, s60                                // 000000005944: 85153C24
	s_mov_b64 exec, s[20:21]                                   // 000000005948: BEFE0114
	buffer_store_dword v53, v6, s[8:11], 0 offen               // 00000000594C: E0701000 80023506
	buffer_store_dword v55, v6, s[8:11], 0 offen offset:128    // 000000005954: E0701080 80023706
	buffer_store_dword v57, v6, s[8:11], 0 offen offset:256    // 00000000595C: E0701100 80023906
	buffer_store_dword v59, v6, s[8:11], 0 offen offset:384    // 000000005964: E0701180 80023B06
	s_mov_b64 exec, s[36:37]                                   // 00000000596C: BEFE0124
	v_mov_b32_e32 v6, v42                                      // 000000005970: 7E0C032A
	s_mov_b64 s[60:61], 0                                      // 000000005974: BEBC0180
	v_readlane_b32 s82, v3, 4                                  // 000000005978: D2890052 00010903
	s_and_b32 s82, s82, 0xffffff                               // 000000005980: 8652FF52 00FFFFFF
	s_cmp_lt_u32 s82, s66                                      // 000000005988: BF0A4252
	s_cselect_b32 s20, s36, s60                                // 00000000598C: 85143C24
	v_readlane_b32 s82, v3, 5                                  // 000000005990: D2890052 00010B03
	s_and_b32 s82, s82, 0xffffff                               // 000000005998: 8652FF52 00FFFFFF
	s_cmp_lt_u32 s82, s66                                      // 0000000059A0: BF0A4252
	s_cselect_b32 s21, s36, s60                                // 0000000059A4: 85153C24
	s_mov_b64 exec, s[20:21]                                   // 0000000059A8: BEFE0114
	buffer_store_dword v60, v6, s[8:11], 0 offen               // 0000000059AC: E0701000 80023C06
	buffer_store_dword v62, v6, s[8:11], 0 offen offset:128    // 0000000059B4: E0701080 80023E06
	buffer_store_dword v64, v6, s[8:11], 0 offen offset:256    // 0000000059BC: E0701100 80024006
	buffer_store_dword v66, v6, s[8:11], 0 offen offset:384    // 0000000059C4: E0701180 80024206
	s_mov_b64 exec, s[36:37]                                   // 0000000059CC: BEFE0124
	v_mov_b32_e32 v6, v43                                      // 0000000059D0: 7E0C032B
	s_mov_b64 s[60:61], 0                                      // 0000000059D4: BEBC0180
	v_readlane_b32 s82, v3, 6                                  // 0000000059D8: D2890052 00010D03
	s_and_b32 s82, s82, 0xffffff                               // 0000000059E0: 8652FF52 00FFFFFF
	s_cmp_lt_u32 s82, s66                                      // 0000000059E8: BF0A4252
	s_cselect_b32 s20, s36, s60                                // 0000000059EC: 85143C24
	v_readlane_b32 s82, v3, 7                                  // 0000000059F0: D2890052 00010F03
	s_and_b32 s82, s82, 0xffffff                               // 0000000059F8: 8652FF52 00FFFFFF
	s_cmp_lt_u32 s82, s66                                      // 000000005A00: BF0A4252
	s_cselect_b32 s21, s36, s60                                // 000000005A04: 85153C24
	s_mov_b64 exec, s[20:21]                                   // 000000005A08: BEFE0114
	buffer_store_dword v61, v6, s[8:11], 0 offen               // 000000005A0C: E0701000 80023D06
	buffer_store_dword v63, v6, s[8:11], 0 offen offset:128    // 000000005A14: E0701080 80023F06
	buffer_store_dword v65, v6, s[8:11], 0 offen offset:256    // 000000005A1C: E0701100 80024106
	buffer_store_dword v67, v6, s[8:11], 0 offen offset:384    // 000000005A24: E0701180 80024306
	s_mov_b64 exec, s[36:37]                                   // 000000005A2C: BEFE0124
	v_mov_b32_e32 v6, v44                                      // 000000005A30: 7E0C032C
	s_mov_b64 s[60:61], 0                                      // 000000005A34: BEBC0180
	v_readlane_b32 s82, v3, 8                                  // 000000005A38: D2890052 00011103
	s_and_b32 s82, s82, 0xffffff                               // 000000005A40: 8652FF52 00FFFFFF
	s_cmp_lt_u32 s82, s66                                      // 000000005A48: BF0A4252
	s_cselect_b32 s20, s36, s60                                // 000000005A4C: 85143C24
	v_readlane_b32 s82, v3, 9                                  // 000000005A50: D2890052 00011303
	s_and_b32 s82, s82, 0xffffff                               // 000000005A58: 8652FF52 00FFFFFF
	s_cmp_lt_u32 s82, s66                                      // 000000005A60: BF0A4252
	s_cselect_b32 s21, s36, s60                                // 000000005A64: 85153C24
	s_mov_b64 exec, s[20:21]                                   // 000000005A68: BEFE0114
	buffer_store_dword v68, v6, s[8:11], 0 offen               // 000000005A6C: E0701000 80024406
	buffer_store_dword v70, v6, s[8:11], 0 offen offset:128    // 000000005A74: E0701080 80024606
	buffer_store_dword v72, v6, s[8:11], 0 offen offset:256    // 000000005A7C: E0701100 80024806
	buffer_store_dword v74, v6, s[8:11], 0 offen offset:384    // 000000005A84: E0701180 80024A06
	s_mov_b64 exec, s[36:37]                                   // 000000005A8C: BEFE0124
	v_mov_b32_e32 v6, v45                                      // 000000005A90: 7E0C032D
	s_mov_b64 s[60:61], 0                                      // 000000005A94: BEBC0180
	v_readlane_b32 s82, v3, 10                                 // 000000005A98: D2890052 00011503
	s_and_b32 s82, s82, 0xffffff                               // 000000005AA0: 8652FF52 00FFFFFF
	s_cmp_lt_u32 s82, s66                                      // 000000005AA8: BF0A4252
	s_cselect_b32 s20, s36, s60                                // 000000005AAC: 85143C24
	v_readlane_b32 s82, v3, 11                                 // 000000005AB0: D2890052 00011703
	s_and_b32 s82, s82, 0xffffff                               // 000000005AB8: 8652FF52 00FFFFFF
	s_cmp_lt_u32 s82, s66                                      // 000000005AC0: BF0A4252
	s_cselect_b32 s21, s36, s60                                // 000000005AC4: 85153C24
	s_mov_b64 exec, s[20:21]                                   // 000000005AC8: BEFE0114
	buffer_store_dword v69, v6, s[8:11], 0 offen               // 000000005ACC: E0701000 80024506
	buffer_store_dword v71, v6, s[8:11], 0 offen offset:128    // 000000005AD4: E0701080 80024706
	buffer_store_dword v73, v6, s[8:11], 0 offen offset:256    // 000000005ADC: E0701100 80024906
	buffer_store_dword v75, v6, s[8:11], 0 offen offset:384    // 000000005AE4: E0701180 80024B06
	s_mov_b64 exec, s[36:37]                                   // 000000005AEC: BEFE0124
	s_branch label_1E4E                                        // 000000005AF0: BF82120E

0000000000005af4 <label_0C3D>:
	ds_write_b64 v20, v[52:53]                                 // 000000005AF4: D89A0000 00003414
	ds_write_b64 v20, v[56:57] offset:8704                     // 000000005AFC: D89A2200 00003814
	ds_write_b64 v20, v[60:61] offset:17408                    // 000000005B04: D89A4400 00003C14
	ds_write_b64 v20, v[64:65] offset:2176                     // 000000005B0C: D89A0880 00004014
	ds_write_b64 v20, v[68:69] offset:10880                    // 000000005B14: D89A2A80 00004414
	ds_write_b64 v20, v[72:73] offset:19584                    // 000000005B1C: D89A4C80 00004814
	ds_write_b64 v20, v[76:77] offset:4352                     // 000000005B24: D89A1100 00004C14
	ds_write_b64 v20, v[80:81] offset:13056                    // 000000005B2C: D89A3300 00005014
	ds_write_b64 v20, v[84:85] offset:21760                    // 000000005B34: D89A5500 00005414
	ds_write_b64 v20, v[88:89] offset:6528                     // 000000005B3C: D89A1980 00005814
	ds_write_b64 v20, v[92:93] offset:15232                    // 000000005B44: D89A3B80 00005C14
	ds_write_b64 v20, v[96:97] offset:23936                    // 000000005B4C: D89A5D80 00006014
	v_lshrrev_b32_e32 v4, 5, v0                                // 000000005B54: 20080085
	v_xor_b32_e32 v5, 1, v4                                    // 000000005B58: 2A0A0881
	s_mul_i32 s60, s65, 2                                      // 000000005B5C: 923C8241
	s_cmp_eq_u32 s88, 0                                        // 000000005B60: BF068058
	s_cselect_b32 s61, 1, 4                                    // 000000005B64: 853D8481
	s_mul_i32 s60, s61, s60                                    // 000000005B68: 923C3C3D
	v_readlane_b32 s82, v3, 0                                  // 000000005B6C: D2890052 00010103
	s_lshr_b32 s61, s82, 24                                    // 000000005B74: 8F3D9852
	s_and_b32 s82, s82, 0xffffff                               // 000000005B78: 8652FF52 00FFFFFF
	s_mul_i32 s82, s82, s71                                    // 000000005B80: 92524752
	s_mul_i32 s61, s60, s61                                    // 000000005B84: 923D3D3C
	s_add_u32 s82, s82, s61                                    // 000000005B88: 80523D52
	v_mul_lo_u32 v6, v5, s82                                   // 000000005B8C: D2850006 0000A505
	v_readlane_b32 s82, v3, 1                                  // 000000005B94: D2890052 00010303
	s_lshr_b32 s61, s82, 24                                    // 000000005B9C: 8F3D9852
	s_and_b32 s82, s82, 0xffffff                               // 000000005BA0: 8652FF52 00FFFFFF
	s_mul_i32 s82, s82, s71                                    // 000000005BA8: 92524752
	s_mul_i32 s61, s60, s61                                    // 000000005BAC: 923D3D3C
	s_add_u32 s82, s82, s61                                    // 000000005BB0: 80523D52
	v_mul_lo_u32 v7, v4, s82                                   // 000000005BB4: D2850007 0000A504
	v_add_u32_e32 v40, v6, v7                                  // 000000005BBC: 68500F06
	v_readlane_b32 s82, v3, 2                                  // 000000005BC0: D2890052 00010503
	s_lshr_b32 s61, s82, 24                                    // 000000005BC8: 8F3D9852
	s_and_b32 s82, s82, 0xffffff                               // 000000005BCC: 8652FF52 00FFFFFF
	s_mul_i32 s82, s82, s71                                    // 000000005BD4: 92524752
	s_mul_i32 s61, s60, s61                                    // 000000005BD8: 923D3D3C
	s_add_u32 s82, s82, s61                                    // 000000005BDC: 80523D52
	v_mul_lo_u32 v6, v5, s82                                   // 000000005BE0: D2850006 0000A505
	v_readlane_b32 s82, v3, 3                                  // 000000005BE8: D2890052 00010703
	s_lshr_b32 s61, s82, 24                                    // 000000005BF0: 8F3D9852
	s_and_b32 s82, s82, 0xffffff                               // 000000005BF4: 8652FF52 00FFFFFF
	s_mul_i32 s82, s82, s71                                    // 000000005BFC: 92524752
	s_mul_i32 s61, s60, s61                                    // 000000005C00: 923D3D3C
	s_add_u32 s82, s82, s61                                    // 000000005C04: 80523D52
	v_mul_lo_u32 v7, v4, s82                                   // 000000005C08: D2850007 0000A504
	v_add_u32_e32 v41, v6, v7                                  // 000000005C10: 68520F06
	v_readlane_b32 s82, v3, 4                                  // 000000005C14: D2890052 00010903
	s_lshr_b32 s61, s82, 24                                    // 000000005C1C: 8F3D9852
	s_and_b32 s82, s82, 0xffffff                               // 000000005C20: 8652FF52 00FFFFFF
	s_mul_i32 s82, s82, s71                                    // 000000005C28: 92524752
	s_mul_i32 s61, s60, s61                                    // 000000005C2C: 923D3D3C
	s_add_u32 s82, s82, s61                                    // 000000005C30: 80523D52
	v_mul_lo_u32 v6, v5, s82                                   // 000000005C34: D2850006 0000A505
	v_readlane_b32 s82, v3, 5                                  // 000000005C3C: D2890052 00010B03
	s_lshr_b32 s61, s82, 24                                    // 000000005C44: 8F3D9852
	s_and_b32 s82, s82, 0xffffff                               // 000000005C48: 8652FF52 00FFFFFF
	s_mul_i32 s82, s82, s71                                    // 000000005C50: 92524752
	s_mul_i32 s61, s60, s61                                    // 000000005C54: 923D3D3C
	s_add_u32 s82, s82, s61                                    // 000000005C58: 80523D52
	v_mul_lo_u32 v7, v4, s82                                   // 000000005C5C: D2850007 0000A504
	v_add_u32_e32 v42, v6, v7                                  // 000000005C64: 68540F06
	v_readlane_b32 s82, v3, 6                                  // 000000005C68: D2890052 00010D03
	s_lshr_b32 s61, s82, 24                                    // 000000005C70: 8F3D9852
	s_and_b32 s82, s82, 0xffffff                               // 000000005C74: 8652FF52 00FFFFFF
	s_mul_i32 s82, s82, s71                                    // 000000005C7C: 92524752
	s_mul_i32 s61, s60, s61                                    // 000000005C80: 923D3D3C
	s_add_u32 s82, s82, s61                                    // 000000005C84: 80523D52
	v_mul_lo_u32 v6, v5, s82                                   // 000000005C88: D2850006 0000A505
	v_readlane_b32 s82, v3, 7                                  // 000000005C90: D2890052 00010F03
	s_lshr_b32 s61, s82, 24                                    // 000000005C98: 8F3D9852
	s_and_b32 s82, s82, 0xffffff                               // 000000005C9C: 8652FF52 00FFFFFF
	s_mul_i32 s82, s82, s71                                    // 000000005CA4: 92524752
	s_mul_i32 s61, s60, s61                                    // 000000005CA8: 923D3D3C
	s_add_u32 s82, s82, s61                                    // 000000005CAC: 80523D52
	v_mul_lo_u32 v7, v4, s82                                   // 000000005CB0: D2850007 0000A504
	v_add_u32_e32 v43, v6, v7                                  // 000000005CB8: 68560F06
	v_readlane_b32 s82, v3, 8                                  // 000000005CBC: D2890052 00011103
	s_lshr_b32 s61, s82, 24                                    // 000000005CC4: 8F3D9852
	s_and_b32 s82, s82, 0xffffff                               // 000000005CC8: 8652FF52 00FFFFFF
	s_mul_i32 s82, s82, s71                                    // 000000005CD0: 92524752
	s_mul_i32 s61, s60, s61                                    // 000000005CD4: 923D3D3C
	s_add_u32 s82, s82, s61                                    // 000000005CD8: 80523D52
	v_mul_lo_u32 v6, v5, s82                                   // 000000005CDC: D2850006 0000A505
	v_readlane_b32 s82, v3, 9                                  // 000000005CE4: D2890052 00011303
	s_lshr_b32 s61, s82, 24                                    // 000000005CEC: 8F3D9852
	s_and_b32 s82, s82, 0xffffff                               // 000000005CF0: 8652FF52 00FFFFFF
	s_mul_i32 s82, s82, s71                                    // 000000005CF8: 92524752
	s_mul_i32 s61, s60, s61                                    // 000000005CFC: 923D3D3C
	s_add_u32 s82, s82, s61                                    // 000000005D00: 80523D52
	v_mul_lo_u32 v7, v4, s82                                   // 000000005D04: D2850007 0000A504
	v_add_u32_e32 v44, v6, v7                                  // 000000005D0C: 68580F06
	v_readlane_b32 s82, v3, 10                                 // 000000005D10: D2890052 00011503
	s_lshr_b32 s61, s82, 24                                    // 000000005D18: 8F3D9852
	s_and_b32 s82, s82, 0xffffff                               // 000000005D1C: 8652FF52 00FFFFFF
	s_mul_i32 s82, s82, s71                                    // 000000005D24: 92524752
	s_mul_i32 s61, s60, s61                                    // 000000005D28: 923D3D3C
	s_add_u32 s82, s82, s61                                    // 000000005D2C: 80523D52
	v_mul_lo_u32 v6, v5, s82                                   // 000000005D30: D2850006 0000A505
	v_readlane_b32 s82, v3, 11                                 // 000000005D38: D2890052 00011703
	s_lshr_b32 s61, s82, 24                                    // 000000005D40: 8F3D9852
	s_and_b32 s82, s82, 0xffffff                               // 000000005D44: 8652FF52 00FFFFFF
	s_mul_i32 s82, s82, s71                                    // 000000005D4C: 92524752
	s_mul_i32 s61, s60, s61                                    // 000000005D50: 923D3D3C
	s_add_u32 s82, s82, s61                                    // 000000005D54: 80523D52
	v_mul_lo_u32 v7, v4, s82                                   // 000000005D58: D2850007 0000A504
	v_add_u32_e32 v45, v6, v7                                  // 000000005D60: 685A0F06
	v_and_b32_e32 v4, 31, v0                                   // 000000005D64: 2608009F
	v_lshrrev_b32_e32 v4, 1, v4                                // 000000005D68: 20080881
	s_cmp_eq_u32 s88, 0                                        // 000000005D6C: BF068058
	s_cselect_b32 s61, 2, 4                                    // 000000005D70: 853D8482
	v_mul_lo_u32 v4, v4, s61                                   // 000000005D74: D2850004 00007B04
	v_and_b32_e64 v5, v0, 1                                    // 000000005D7C: D1130005 00010300
	v_add_u32_e32 v4, v4, v5                                   // 000000005D84: 68080B04
	v_lshlrev_b32_e32 v4, 2, v4                                // 000000005D88: 24080882
	v_add_u32_e32 v40, v40, v4                                 // 000000005D8C: 68500928
	v_add_u32_e32 v41, v41, v4                                 // 000000005D90: 68520929
	v_add_u32_e32 v42, v42, v4                                 // 000000005D94: 6854092A
	v_add_u32_e32 v43, v43, v4                                 // 000000005D98: 6856092B
	v_add_u32_e32 v44, v44, v4                                 // 000000005D9C: 6858092C
	v_add_u32_e32 v45, v45, v4                                 // 000000005DA0: 685A092D
	s_waitcnt lgkmcnt(0)                                       // 000000005DA4: BF8CC07F
	s_barrier                                                  // 000000005DA8: BF8A0000
	ds_read_b32 v52, v21                                       // 000000005DAC: D86C0000 34000015
	ds_read_b32 v53, v21 offset:64                             // 000000005DB4: D86C0040 35000015
	ds_read_b32 v56, v21 offset:2176                           // 000000005DBC: D86C0880 38000015
	ds_read_b32 v57, v21 offset:2240                           // 000000005DC4: D86C08C0 39000015
	ds_read_b32 v60, v21 offset:4352                           // 000000005DCC: D86C1100 3C000015
	ds_read_b32 v61, v21 offset:4416                           // 000000005DD4: D86C1140 3D000015
	ds_read_b32 v64, v21 offset:6528                           // 000000005DDC: D86C1980 40000015
	ds_read_b32 v65, v21 offset:6592                           // 000000005DE4: D86C19C0 41000015
	ds_read_b32 v68, v21 offset:8704                           // 000000005DEC: D86C2200 44000015
	ds_read_b32 v69, v21 offset:8768                           // 000000005DF4: D86C2240 45000015
	ds_read_b32 v72, v21 offset:10880                          // 000000005DFC: D86C2A80 48000015
	ds_read_b32 v73, v21 offset:10944                          // 000000005E04: D86C2AC0 49000015
	ds_read_b32 v76, v21 offset:13056                          // 000000005E0C: D86C3300 4C000015
	ds_read_b32 v77, v21 offset:13120                          // 000000005E14: D86C3340 4D000015
	ds_read_b32 v80, v21 offset:15232                          // 000000005E1C: D86C3B80 50000015
	ds_read_b32 v81, v21 offset:15296                          // 000000005E24: D86C3BC0 51000015
	ds_read_b32 v84, v21 offset:17408                          // 000000005E2C: D86C4400 54000015
	ds_read_b32 v85, v21 offset:17472                          // 000000005E34: D86C4440 55000015
	ds_read_b32 v88, v21 offset:19584                          // 000000005E3C: D86C4C80 58000015
	ds_read_b32 v89, v21 offset:19648                          // 000000005E44: D86C4CC0 59000015
	ds_read_b32 v92, v21 offset:21760                          // 000000005E4C: D86C5500 5C000015
	ds_read_b32 v93, v21 offset:21824                          // 000000005E54: D86C5540 5D000015
	ds_read_b32 v96, v21 offset:23936                          // 000000005E5C: D86C5D80 60000015
	ds_read_b32 v97, v21 offset:24000                          // 000000005E64: D86C5DC0 61000015
	s_waitcnt lgkmcnt(0)                                       // 000000005E6C: BF8CC07F
	s_mov_b32 s36, -1                                          // 000000005E70: BEA400C1
	s_mov_b32 s37, -1                                          // 000000005E74: BEA500C1
	v_mov_b32_e32 v7, 0                                        // 000000005E78: 7E0E0280
	s_mov_b64 exec, s[36:37]                                   // 000000005E7C: BEFE0124
	v_mov_b32_e32 v6, v40                                      // 000000005E80: 7E0C0328
	s_mov_b64 s[60:61], 0                                      // 000000005E84: BEBC0180
	v_readlane_b32 s82, v3, 0                                  // 000000005E88: D2890052 00010103
	s_and_b32 s82, s82, 0xffffff                               // 000000005E90: 8652FF52 00FFFFFF
	s_cmp_lt_u32 s82, s66                                      // 000000005E98: BF0A4252
	s_cselect_b32 s20, s36, s60                                // 000000005E9C: 85143C24
	v_readlane_b32 s82, v3, 1                                  // 000000005EA0: D2890052 00010303
	s_and_b32 s82, s82, 0xffffff                               // 000000005EA8: 8652FF52 00FFFFFF
	s_cmp_lt_u32 s82, s66                                      // 000000005EB0: BF0A4252
	s_cselect_b32 s21, s36, s60                                // 000000005EB4: 85153C24
	s_mov_b64 exec, s[20:21]                                   // 000000005EB8: BEFE0114
	global_atomic_add_f32 v6, v52, s[8:9]                      // 000000005EBC: DD348000 00083406
	global_atomic_add_f32 v6, v56, s[8:9] offset:256           // 000000005EC4: DD348100 00083806
	global_atomic_add_f32 v6, v60, s[8:9] offset:512           // 000000005ECC: DD348200 00083C06
	global_atomic_add_f32 v6, v64, s[8:9] offset:768           // 000000005ED4: DD348300 00084006
	s_mov_b64 exec, s[36:37]                                   // 000000005EDC: BEFE0124
	v_mov_b32_e32 v6, v41                                      // 000000005EE0: 7E0C0329
	s_mov_b64 s[60:61], 0                                      // 000000005EE4: BEBC0180
	v_readlane_b32 s82, v3, 2                                  // 000000005EE8: D2890052 00010503
	s_and_b32 s82, s82, 0xffffff                               // 000000005EF0: 8652FF52 00FFFFFF
	s_cmp_lt_u32 s82, s66                                      // 000000005EF8: BF0A4252
	s_cselect_b32 s20, s36, s60                                // 000000005EFC: 85143C24
	v_readlane_b32 s82, v3, 3                                  // 000000005F00: D2890052 00010703
	s_and_b32 s82, s82, 0xffffff                               // 000000005F08: 8652FF52 00FFFFFF
	s_cmp_lt_u32 s82, s66                                      // 000000005F10: BF0A4252
	s_cselect_b32 s21, s36, s60                                // 000000005F14: 85153C24
	s_mov_b64 exec, s[20:21]                                   // 000000005F18: BEFE0114
	global_atomic_add_f32 v6, v53, s[8:9]                      // 000000005F1C: DD348000 00083506
	global_atomic_add_f32 v6, v57, s[8:9] offset:256           // 000000005F24: DD348100 00083906
	global_atomic_add_f32 v6, v61, s[8:9] offset:512           // 000000005F2C: DD348200 00083D06
	global_atomic_add_f32 v6, v65, s[8:9] offset:768           // 000000005F34: DD348300 00084106
	s_mov_b64 exec, s[36:37]                                   // 000000005F3C: BEFE0124
	v_mov_b32_e32 v6, v42                                      // 000000005F40: 7E0C032A
	s_mov_b64 s[60:61], 0                                      // 000000005F44: BEBC0180
	v_readlane_b32 s82, v3, 4                                  // 000000005F48: D2890052 00010903
	s_and_b32 s82, s82, 0xffffff                               // 000000005F50: 8652FF52 00FFFFFF
	s_cmp_lt_u32 s82, s66                                      // 000000005F58: BF0A4252
	s_cselect_b32 s20, s36, s60                                // 000000005F5C: 85143C24
	v_readlane_b32 s82, v3, 5                                  // 000000005F60: D2890052 00010B03
	s_and_b32 s82, s82, 0xffffff                               // 000000005F68: 8652FF52 00FFFFFF
	s_cmp_lt_u32 s82, s66                                      // 000000005F70: BF0A4252
	s_cselect_b32 s21, s36, s60                                // 000000005F74: 85153C24
	s_mov_b64 exec, s[20:21]                                   // 000000005F78: BEFE0114
	global_atomic_add_f32 v6, v68, s[8:9]                      // 000000005F7C: DD348000 00084406
	global_atomic_add_f32 v6, v72, s[8:9] offset:256           // 000000005F84: DD348100 00084806
	global_atomic_add_f32 v6, v76, s[8:9] offset:512           // 000000005F8C: DD348200 00084C06
	global_atomic_add_f32 v6, v80, s[8:9] offset:768           // 000000005F94: DD348300 00085006
	s_mov_b64 exec, s[36:37]                                   // 000000005F9C: BEFE0124
	v_mov_b32_e32 v6, v43                                      // 000000005FA0: 7E0C032B
	s_mov_b64 s[60:61], 0                                      // 000000005FA4: BEBC0180
	v_readlane_b32 s82, v3, 6                                  // 000000005FA8: D2890052 00010D03
	s_and_b32 s82, s82, 0xffffff                               // 000000005FB0: 8652FF52 00FFFFFF
	s_cmp_lt_u32 s82, s66                                      // 000000005FB8: BF0A4252
	s_cselect_b32 s20, s36, s60                                // 000000005FBC: 85143C24
	v_readlane_b32 s82, v3, 7                                  // 000000005FC0: D2890052 00010F03
	s_and_b32 s82, s82, 0xffffff                               // 000000005FC8: 8652FF52 00FFFFFF
	s_cmp_lt_u32 s82, s66                                      // 000000005FD0: BF0A4252
	s_cselect_b32 s21, s36, s60                                // 000000005FD4: 85153C24
	s_mov_b64 exec, s[20:21]                                   // 000000005FD8: BEFE0114
	global_atomic_add_f32 v6, v69, s[8:9]                      // 000000005FDC: DD348000 00084506
	global_atomic_add_f32 v6, v73, s[8:9] offset:256           // 000000005FE4: DD348100 00084906
	global_atomic_add_f32 v6, v77, s[8:9] offset:512           // 000000005FEC: DD348200 00084D06
	global_atomic_add_f32 v6, v81, s[8:9] offset:768           // 000000005FF4: DD348300 00085106
	s_mov_b64 exec, s[36:37]                                   // 000000005FFC: BEFE0124
	v_mov_b32_e32 v6, v44                                      // 000000006000: 7E0C032C
	s_mov_b64 s[60:61], 0                                      // 000000006004: BEBC0180
	v_readlane_b32 s82, v3, 8                                  // 000000006008: D2890052 00011103
	s_and_b32 s82, s82, 0xffffff                               // 000000006010: 8652FF52 00FFFFFF
	s_cmp_lt_u32 s82, s66                                      // 000000006018: BF0A4252
	s_cselect_b32 s20, s36, s60                                // 00000000601C: 85143C24
	v_readlane_b32 s82, v3, 9                                  // 000000006020: D2890052 00011303
	s_and_b32 s82, s82, 0xffffff                               // 000000006028: 8652FF52 00FFFFFF
	s_cmp_lt_u32 s82, s66                                      // 000000006030: BF0A4252
	s_cselect_b32 s21, s36, s60                                // 000000006034: 85153C24
	s_mov_b64 exec, s[20:21]                                   // 000000006038: BEFE0114
	global_atomic_add_f32 v6, v84, s[8:9]                      // 00000000603C: DD348000 00085406
	global_atomic_add_f32 v6, v88, s[8:9] offset:256           // 000000006044: DD348100 00085806
	global_atomic_add_f32 v6, v92, s[8:9] offset:512           // 00000000604C: DD348200 00085C06
	global_atomic_add_f32 v6, v96, s[8:9] offset:768           // 000000006054: DD348300 00086006
	s_mov_b64 exec, s[36:37]                                   // 00000000605C: BEFE0124
	v_mov_b32_e32 v6, v45                                      // 000000006060: 7E0C032D
	s_mov_b64 s[60:61], 0                                      // 000000006064: BEBC0180
	v_readlane_b32 s82, v3, 10                                 // 000000006068: D2890052 00011503
	s_and_b32 s82, s82, 0xffffff                               // 000000006070: 8652FF52 00FFFFFF
	s_cmp_lt_u32 s82, s66                                      // 000000006078: BF0A4252
	s_cselect_b32 s20, s36, s60                                // 00000000607C: 85143C24
	v_readlane_b32 s82, v3, 11                                 // 000000006080: D2890052 00011703
	s_and_b32 s82, s82, 0xffffff                               // 000000006088: 8652FF52 00FFFFFF
	s_cmp_lt_u32 s82, s66                                      // 000000006090: BF0A4252
	s_cselect_b32 s21, s36, s60                                // 000000006094: 85153C24
	s_mov_b64 exec, s[20:21]                                   // 000000006098: BEFE0114
	global_atomic_add_f32 v6, v85, s[8:9]                      // 00000000609C: DD348000 00085506
	global_atomic_add_f32 v6, v89, s[8:9] offset:256           // 0000000060A4: DD348100 00085906
	global_atomic_add_f32 v6, v93, s[8:9] offset:512           // 0000000060AC: DD348200 00085D06
	global_atomic_add_f32 v6, v97, s[8:9] offset:768           // 0000000060B4: DD348300 00086106
	s_mov_b64 exec, s[36:37]                                   // 0000000060BC: BEFE0124
	ds_write_b64 v20, v[54:55]                                 // 0000000060C0: D89A0000 00003614
	ds_write_b64 v20, v[58:59] offset:8704                     // 0000000060C8: D89A2200 00003A14
	ds_write_b64 v20, v[62:63] offset:17408                    // 0000000060D0: D89A4400 00003E14
	ds_write_b64 v20, v[66:67] offset:2176                     // 0000000060D8: D89A0880 00004214
	ds_write_b64 v20, v[70:71] offset:10880                    // 0000000060E0: D89A2A80 00004614
	ds_write_b64 v20, v[74:75] offset:19584                    // 0000000060E8: D89A4C80 00004A14
	ds_write_b64 v20, v[78:79] offset:4352                     // 0000000060F0: D89A1100 00004E14
	ds_write_b64 v20, v[82:83] offset:13056                    // 0000000060F8: D89A3300 00005214
	ds_write_b64 v20, v[86:87] offset:21760                    // 000000006100: D89A5500 00005614
	ds_write_b64 v20, v[90:91] offset:6528                     // 000000006108: D89A1980 00005A14
	ds_write_b64 v20, v[94:95] offset:15232                    // 000000006110: D89A3B80 00005E14
	ds_write_b64 v20, v[98:99] offset:23936                    // 000000006118: D89A5D80 00006214
	s_waitcnt lgkmcnt(0)                                       // 000000006120: BF8CC07F
	s_barrier                                                  // 000000006124: BF8A0000
	ds_read_b32 v54, v21                                       // 000000006128: D86C0000 36000015
	ds_read_b32 v55, v21 offset:64                             // 000000006130: D86C0040 37000015
	ds_read_b32 v58, v21 offset:2176                           // 000000006138: D86C0880 3A000015
	ds_read_b32 v59, v21 offset:2240                           // 000000006140: D86C08C0 3B000015
	ds_read_b32 v62, v21 offset:4352                           // 000000006148: D86C1100 3E000015
	ds_read_b32 v63, v21 offset:4416                           // 000000006150: D86C1140 3F000015
	ds_read_b32 v66, v21 offset:6528                           // 000000006158: D86C1980 42000015
	ds_read_b32 v67, v21 offset:6592                           // 000000006160: D86C19C0 43000015
	ds_read_b32 v70, v21 offset:8704                           // 000000006168: D86C2200 46000015
	ds_read_b32 v71, v21 offset:8768                           // 000000006170: D86C2240 47000015
	ds_read_b32 v74, v21 offset:10880                          // 000000006178: D86C2A80 4A000015
	ds_read_b32 v75, v21 offset:10944                          // 000000006180: D86C2AC0 4B000015
	ds_read_b32 v78, v21 offset:13056                          // 000000006188: D86C3300 4E000015
	ds_read_b32 v79, v21 offset:13120                          // 000000006190: D86C3340 4F000015
	ds_read_b32 v82, v21 offset:15232                          // 000000006198: D86C3B80 52000015
	ds_read_b32 v83, v21 offset:15296                          // 0000000061A0: D86C3BC0 53000015
	ds_read_b32 v86, v21 offset:17408                          // 0000000061A8: D86C4400 56000015
	ds_read_b32 v87, v21 offset:17472                          // 0000000061B0: D86C4440 57000015
	ds_read_b32 v90, v21 offset:19584                          // 0000000061B8: D86C4C80 5A000015
	ds_read_b32 v91, v21 offset:19648                          // 0000000061C0: D86C4CC0 5B000015
	ds_read_b32 v94, v21 offset:21760                          // 0000000061C8: D86C5500 5E000015
	ds_read_b32 v95, v21 offset:21824                          // 0000000061D0: D86C5540 5F000015
	ds_read_b32 v98, v21 offset:23936                          // 0000000061D8: D86C5D80 62000015
	ds_read_b32 v99, v21 offset:24000                          // 0000000061E0: D86C5DC0 63000015
	s_waitcnt lgkmcnt(0)                                       // 0000000061E8: BF8CC07F
	v_mov_b32_e32 v7, 0                                        // 0000000061EC: 7E0E0280
	s_mov_b64 exec, s[36:37]                                   // 0000000061F0: BEFE0124
	v_mov_b32_e32 v6, v40                                      // 0000000061F4: 7E0C0328
	s_mov_b64 s[60:61], 0                                      // 0000000061F8: BEBC0180
	v_readlane_b32 s82, v3, 0                                  // 0000000061FC: D2890052 00010103
	s_and_b32 s82, s82, 0xffffff                               // 000000006204: 8652FF52 00FFFFFF
	s_cmp_lt_u32 s82, s66                                      // 00000000620C: BF0A4252
	s_cselect_b32 s20, s36, s60                                // 000000006210: 85143C24
	v_readlane_b32 s82, v3, 1                                  // 000000006214: D2890052 00010303
	s_and_b32 s82, s82, 0xffffff                               // 00000000621C: 8652FF52 00FFFFFF
	s_cmp_lt_u32 s82, s66                                      // 000000006224: BF0A4252
	s_cselect_b32 s21, s36, s60                                // 000000006228: 85153C24
	s_mov_b64 exec, s[20:21]                                   // 00000000622C: BEFE0114
	global_atomic_add_f32 v6, v54, s[8:9] offset:8             // 000000006230: DD348008 00083606
	global_atomic_add_f32 v6, v58, s[8:9] offset:264           // 000000006238: DD348108 00083A06
	global_atomic_add_f32 v6, v62, s[8:9] offset:520           // 000000006240: DD348208 00083E06
	global_atomic_add_f32 v6, v66, s[8:9] offset:776           // 000000006248: DD348308 00084206
	s_mov_b64 exec, s[36:37]                                   // 000000006250: BEFE0124
	v_mov_b32_e32 v6, v41                                      // 000000006254: 7E0C0329
	s_mov_b64 s[60:61], 0                                      // 000000006258: BEBC0180
	v_readlane_b32 s82, v3, 2                                  // 00000000625C: D2890052 00010503
	s_and_b32 s82, s82, 0xffffff                               // 000000006264: 8652FF52 00FFFFFF
	s_cmp_lt_u32 s82, s66                                      // 00000000626C: BF0A4252
	s_cselect_b32 s20, s36, s60                                // 000000006270: 85143C24
	v_readlane_b32 s82, v3, 3                                  // 000000006274: D2890052 00010703
	s_and_b32 s82, s82, 0xffffff                               // 00000000627C: 8652FF52 00FFFFFF
	s_cmp_lt_u32 s82, s66                                      // 000000006284: BF0A4252
	s_cselect_b32 s21, s36, s60                                // 000000006288: 85153C24
	s_mov_b64 exec, s[20:21]                                   // 00000000628C: BEFE0114
	global_atomic_add_f32 v6, v55, s[8:9] offset:8             // 000000006290: DD348008 00083706
	global_atomic_add_f32 v6, v59, s[8:9] offset:264           // 000000006298: DD348108 00083B06
	global_atomic_add_f32 v6, v63, s[8:9] offset:520           // 0000000062A0: DD348208 00083F06
	global_atomic_add_f32 v6, v67, s[8:9] offset:776           // 0000000062A8: DD348308 00084306
	s_mov_b64 exec, s[36:37]                                   // 0000000062B0: BEFE0124
	v_mov_b32_e32 v6, v42                                      // 0000000062B4: 7E0C032A
	s_mov_b64 s[60:61], 0                                      // 0000000062B8: BEBC0180
	v_readlane_b32 s82, v3, 4                                  // 0000000062BC: D2890052 00010903
	s_and_b32 s82, s82, 0xffffff                               // 0000000062C4: 8652FF52 00FFFFFF
	s_cmp_lt_u32 s82, s66                                      // 0000000062CC: BF0A4252
	s_cselect_b32 s20, s36, s60                                // 0000000062D0: 85143C24
	v_readlane_b32 s82, v3, 5                                  // 0000000062D4: D2890052 00010B03
	s_and_b32 s82, s82, 0xffffff                               // 0000000062DC: 8652FF52 00FFFFFF
	s_cmp_lt_u32 s82, s66                                      // 0000000062E4: BF0A4252
	s_cselect_b32 s21, s36, s60                                // 0000000062E8: 85153C24
	s_mov_b64 exec, s[20:21]                                   // 0000000062EC: BEFE0114
	global_atomic_add_f32 v6, v70, s[8:9] offset:8             // 0000000062F0: DD348008 00084606
	global_atomic_add_f32 v6, v74, s[8:9] offset:264           // 0000000062F8: DD348108 00084A06
	global_atomic_add_f32 v6, v78, s[8:9] offset:520           // 000000006300: DD348208 00084E06
	global_atomic_add_f32 v6, v82, s[8:9] offset:776           // 000000006308: DD348308 00085206
	s_mov_b64 exec, s[36:37]                                   // 000000006310: BEFE0124
	v_mov_b32_e32 v6, v43                                      // 000000006314: 7E0C032B
	s_mov_b64 s[60:61], 0                                      // 000000006318: BEBC0180
	v_readlane_b32 s82, v3, 6                                  // 00000000631C: D2890052 00010D03
	s_and_b32 s82, s82, 0xffffff                               // 000000006324: 8652FF52 00FFFFFF
	s_cmp_lt_u32 s82, s66                                      // 00000000632C: BF0A4252
	s_cselect_b32 s20, s36, s60                                // 000000006330: 85143C24
	v_readlane_b32 s82, v3, 7                                  // 000000006334: D2890052 00010F03
	s_and_b32 s82, s82, 0xffffff                               // 00000000633C: 8652FF52 00FFFFFF
	s_cmp_lt_u32 s82, s66                                      // 000000006344: BF0A4252
	s_cselect_b32 s21, s36, s60                                // 000000006348: 85153C24
	s_mov_b64 exec, s[20:21]                                   // 00000000634C: BEFE0114
	global_atomic_add_f32 v6, v71, s[8:9] offset:8             // 000000006350: DD348008 00084706
	global_atomic_add_f32 v6, v75, s[8:9] offset:264           // 000000006358: DD348108 00084B06
	global_atomic_add_f32 v6, v79, s[8:9] offset:520           // 000000006360: DD348208 00084F06
	global_atomic_add_f32 v6, v83, s[8:9] offset:776           // 000000006368: DD348308 00085306
	s_mov_b64 exec, s[36:37]                                   // 000000006370: BEFE0124
	v_mov_b32_e32 v6, v44                                      // 000000006374: 7E0C032C
	s_mov_b64 s[60:61], 0                                      // 000000006378: BEBC0180
	v_readlane_b32 s82, v3, 8                                  // 00000000637C: D2890052 00011103
	s_and_b32 s82, s82, 0xffffff                               // 000000006384: 8652FF52 00FFFFFF
	s_cmp_lt_u32 s82, s66                                      // 00000000638C: BF0A4252
	s_cselect_b32 s20, s36, s60                                // 000000006390: 85143C24
	v_readlane_b32 s82, v3, 9                                  // 000000006394: D2890052 00011303
	s_and_b32 s82, s82, 0xffffff                               // 00000000639C: 8652FF52 00FFFFFF
	s_cmp_lt_u32 s82, s66                                      // 0000000063A4: BF0A4252
	s_cselect_b32 s21, s36, s60                                // 0000000063A8: 85153C24
	s_mov_b64 exec, s[20:21]                                   // 0000000063AC: BEFE0114
	global_atomic_add_f32 v6, v86, s[8:9] offset:8             // 0000000063B0: DD348008 00085606
	global_atomic_add_f32 v6, v90, s[8:9] offset:264           // 0000000063B8: DD348108 00085A06
	global_atomic_add_f32 v6, v94, s[8:9] offset:520           // 0000000063C0: DD348208 00085E06
	global_atomic_add_f32 v6, v98, s[8:9] offset:776           // 0000000063C8: DD348308 00086206
	s_mov_b64 exec, s[36:37]                                   // 0000000063D0: BEFE0124
	v_mov_b32_e32 v6, v45                                      // 0000000063D4: 7E0C032D
	s_mov_b64 s[60:61], 0                                      // 0000000063D8: BEBC0180
	v_readlane_b32 s82, v3, 10                                 // 0000000063DC: D2890052 00011503
	s_and_b32 s82, s82, 0xffffff                               // 0000000063E4: 8652FF52 00FFFFFF
	s_cmp_lt_u32 s82, s66                                      // 0000000063EC: BF0A4252
	s_cselect_b32 s20, s36, s60                                // 0000000063F0: 85143C24
	v_readlane_b32 s82, v3, 11                                 // 0000000063F4: D2890052 00011703
	s_and_b32 s82, s82, 0xffffff                               // 0000000063FC: 8652FF52 00FFFFFF
	s_cmp_lt_u32 s82, s66                                      // 000000006404: BF0A4252
	s_cselect_b32 s21, s36, s60                                // 000000006408: 85153C24
	s_mov_b64 exec, s[20:21]                                   // 00000000640C: BEFE0114
	global_atomic_add_f32 v6, v87, s[8:9] offset:8             // 000000006410: DD348008 00085706
	global_atomic_add_f32 v6, v91, s[8:9] offset:264           // 000000006418: DD348108 00085B06
	global_atomic_add_f32 v6, v95, s[8:9] offset:520           // 000000006420: DD348208 00085F06
	global_atomic_add_f32 v6, v99, s[8:9] offset:776           // 000000006428: DD348308 00086306
	s_mov_b64 exec, s[36:37]                                   // 000000006430: BEFE0124
	ds_write_b64 v20, v[100:101]                               // 000000006434: D89A0000 00006414
	ds_write_b64 v20, v[104:105] offset:8704                   // 00000000643C: D89A2200 00006814
	ds_write_b64 v20, v[108:109] offset:17408                  // 000000006444: D89A4400 00006C14
	ds_write_b64 v20, v[112:113] offset:2176                   // 00000000644C: D89A0880 00007014
	ds_write_b64 v20, v[116:117] offset:10880                  // 000000006454: D89A2A80 00007414
	ds_write_b64 v20, v[120:121] offset:19584                  // 00000000645C: D89A4C80 00007814
	ds_write_b64 v20, v[124:125] offset:4352                   // 000000006464: D89A1100 00007C14
	ds_write_b64 v20, v[128:129] offset:13056                  // 00000000646C: D89A3300 00008014
	ds_write_b64 v20, v[132:133] offset:21760                  // 000000006474: D89A5500 00008414
	ds_write_b64 v20, v[136:137] offset:6528                   // 00000000647C: D89A1980 00008814
	ds_write_b64 v20, v[140:141] offset:15232                  // 000000006484: D89A3B80 00008C14
	ds_write_b64 v20, v[144:145] offset:23936                  // 00000000648C: D89A5D80 00009014
	s_waitcnt lgkmcnt(0)                                       // 000000006494: BF8CC07F
	s_barrier                                                  // 000000006498: BF8A0000
	ds_read_b32 v100, v21                                      // 00000000649C: D86C0000 64000015
	ds_read_b32 v101, v21 offset:64                            // 0000000064A4: D86C0040 65000015
	ds_read_b32 v104, v21 offset:2176                          // 0000000064AC: D86C0880 68000015
	ds_read_b32 v105, v21 offset:2240                          // 0000000064B4: D86C08C0 69000015
	ds_read_b32 v108, v21 offset:4352                          // 0000000064BC: D86C1100 6C000015
	ds_read_b32 v109, v21 offset:4416                          // 0000000064C4: D86C1140 6D000015
	ds_read_b32 v112, v21 offset:6528                          // 0000000064CC: D86C1980 70000015
	ds_read_b32 v113, v21 offset:6592                          // 0000000064D4: D86C19C0 71000015
	ds_read_b32 v116, v21 offset:8704                          // 0000000064DC: D86C2200 74000015
	ds_read_b32 v117, v21 offset:8768                          // 0000000064E4: D86C2240 75000015
	ds_read_b32 v120, v21 offset:10880                         // 0000000064EC: D86C2A80 78000015
	ds_read_b32 v121, v21 offset:10944                         // 0000000064F4: D86C2AC0 79000015
	ds_read_b32 v124, v21 offset:13056                         // 0000000064FC: D86C3300 7C000015
	ds_read_b32 v125, v21 offset:13120                         // 000000006504: D86C3340 7D000015
	ds_read_b32 v128, v21 offset:15232                         // 00000000650C: D86C3B80 80000015
	ds_read_b32 v129, v21 offset:15296                         // 000000006514: D86C3BC0 81000015
	ds_read_b32 v132, v21 offset:17408                         // 00000000651C: D86C4400 84000015
	ds_read_b32 v133, v21 offset:17472                         // 000000006524: D86C4440 85000015
	ds_read_b32 v136, v21 offset:19584                         // 00000000652C: D86C4C80 88000015
	ds_read_b32 v137, v21 offset:19648                         // 000000006534: D86C4CC0 89000015
	ds_read_b32 v140, v21 offset:21760                         // 00000000653C: D86C5500 8C000015
	ds_read_b32 v141, v21 offset:21824                         // 000000006544: D86C5540 8D000015
	ds_read_b32 v144, v21 offset:23936                         // 00000000654C: D86C5D80 90000015
	ds_read_b32 v145, v21 offset:24000                         // 000000006554: D86C5DC0 91000015
	s_mul_i32 s60, s65, 4                                      // 00000000655C: 923C8441
	s_add_u32 s8, s60, s8                                      // 000000006560: 8008083C
	s_addc_u32 s9, 0, s9                                       // 000000006564: 82090980
	s_waitcnt lgkmcnt(0)                                       // 000000006568: BF8CC07F
	v_mov_b32_e32 v7, 0                                        // 00000000656C: 7E0E0280
	s_mov_b64 exec, s[36:37]                                   // 000000006570: BEFE0124
	v_mov_b32_e32 v6, v40                                      // 000000006574: 7E0C0328
	s_mov_b64 s[60:61], 0                                      // 000000006578: BEBC0180
	v_readlane_b32 s82, v3, 0                                  // 00000000657C: D2890052 00010103
	s_and_b32 s82, s82, 0xffffff                               // 000000006584: 8652FF52 00FFFFFF
	s_cmp_lt_u32 s82, s66                                      // 00000000658C: BF0A4252
	s_cselect_b32 s20, s36, s60                                // 000000006590: 85143C24
	v_readlane_b32 s82, v3, 1                                  // 000000006594: D2890052 00010303
	s_and_b32 s82, s82, 0xffffff                               // 00000000659C: 8652FF52 00FFFFFF
	s_cmp_lt_u32 s82, s66                                      // 0000000065A4: BF0A4252
	s_cselect_b32 s21, s36, s60                                // 0000000065A8: 85153C24
	s_mov_b64 exec, s[20:21]                                   // 0000000065AC: BEFE0114
	global_atomic_add_f32 v6, v100, s[8:9]                     // 0000000065B0: DD348000 00086406
	global_atomic_add_f32 v6, v104, s[8:9] offset:256          // 0000000065B8: DD348100 00086806
	global_atomic_add_f32 v6, v108, s[8:9] offset:512          // 0000000065C0: DD348200 00086C06
	global_atomic_add_f32 v6, v112, s[8:9] offset:768          // 0000000065C8: DD348300 00087006
	s_mov_b64 exec, s[36:37]                                   // 0000000065D0: BEFE0124
	v_mov_b32_e32 v6, v41                                      // 0000000065D4: 7E0C0329
	s_mov_b64 s[60:61], 0                                      // 0000000065D8: BEBC0180
	v_readlane_b32 s82, v3, 2                                  // 0000000065DC: D2890052 00010503
	s_and_b32 s82, s82, 0xffffff                               // 0000000065E4: 8652FF52 00FFFFFF
	s_cmp_lt_u32 s82, s66                                      // 0000000065EC: BF0A4252
	s_cselect_b32 s20, s36, s60                                // 0000000065F0: 85143C24
	v_readlane_b32 s82, v3, 3                                  // 0000000065F4: D2890052 00010703
	s_and_b32 s82, s82, 0xffffff                               // 0000000065FC: 8652FF52 00FFFFFF
	s_cmp_lt_u32 s82, s66                                      // 000000006604: BF0A4252
	s_cselect_b32 s21, s36, s60                                // 000000006608: 85153C24
	s_mov_b64 exec, s[20:21]                                   // 00000000660C: BEFE0114
	global_atomic_add_f32 v6, v101, s[8:9]                     // 000000006610: DD348000 00086506
	global_atomic_add_f32 v6, v105, s[8:9] offset:256          // 000000006618: DD348100 00086906
	global_atomic_add_f32 v6, v109, s[8:9] offset:512          // 000000006620: DD348200 00086D06
	global_atomic_add_f32 v6, v113, s[8:9] offset:768          // 000000006628: DD348300 00087106
	s_mov_b64 exec, s[36:37]                                   // 000000006630: BEFE0124
	v_mov_b32_e32 v6, v42                                      // 000000006634: 7E0C032A
	s_mov_b64 s[60:61], 0                                      // 000000006638: BEBC0180
	v_readlane_b32 s82, v3, 4                                  // 00000000663C: D2890052 00010903
	s_and_b32 s82, s82, 0xffffff                               // 000000006644: 8652FF52 00FFFFFF
	s_cmp_lt_u32 s82, s66                                      // 00000000664C: BF0A4252
	s_cselect_b32 s20, s36, s60                                // 000000006650: 85143C24
	v_readlane_b32 s82, v3, 5                                  // 000000006654: D2890052 00010B03
	s_and_b32 s82, s82, 0xffffff                               // 00000000665C: 8652FF52 00FFFFFF
	s_cmp_lt_u32 s82, s66                                      // 000000006664: BF0A4252
	s_cselect_b32 s21, s36, s60                                // 000000006668: 85153C24
	s_mov_b64 exec, s[20:21]                                   // 00000000666C: BEFE0114
	global_atomic_add_f32 v6, v116, s[8:9]                     // 000000006670: DD348000 00087406
	global_atomic_add_f32 v6, v120, s[8:9] offset:256          // 000000006678: DD348100 00087806
	global_atomic_add_f32 v6, v124, s[8:9] offset:512          // 000000006680: DD348200 00087C06
	global_atomic_add_f32 v6, v128, s[8:9] offset:768          // 000000006688: DD348300 00088006
	s_mov_b64 exec, s[36:37]                                   // 000000006690: BEFE0124
	v_mov_b32_e32 v6, v43                                      // 000000006694: 7E0C032B
	s_mov_b64 s[60:61], 0                                      // 000000006698: BEBC0180
	v_readlane_b32 s82, v3, 6                                  // 00000000669C: D2890052 00010D03
	s_and_b32 s82, s82, 0xffffff                               // 0000000066A4: 8652FF52 00FFFFFF
	s_cmp_lt_u32 s82, s66                                      // 0000000066AC: BF0A4252
	s_cselect_b32 s20, s36, s60                                // 0000000066B0: 85143C24
	v_readlane_b32 s82, v3, 7                                  // 0000000066B4: D2890052 00010F03
	s_and_b32 s82, s82, 0xffffff                               // 0000000066BC: 8652FF52 00FFFFFF
	s_cmp_lt_u32 s82, s66                                      // 0000000066C4: BF0A4252
	s_cselect_b32 s21, s36, s60                                // 0000000066C8: 85153C24
	s_mov_b64 exec, s[20:21]                                   // 0000000066CC: BEFE0114
	global_atomic_add_f32 v6, v117, s[8:9]                     // 0000000066D0: DD348000 00087506
	global_atomic_add_f32 v6, v121, s[8:9] offset:256          // 0000000066D8: DD348100 00087906
	global_atomic_add_f32 v6, v125, s[8:9] offset:512          // 0000000066E0: DD348200 00087D06
	global_atomic_add_f32 v6, v129, s[8:9] offset:768          // 0000000066E8: DD348300 00088106
	s_mov_b64 exec, s[36:37]                                   // 0000000066F0: BEFE0124
	v_mov_b32_e32 v6, v44                                      // 0000000066F4: 7E0C032C
	s_mov_b64 s[60:61], 0                                      // 0000000066F8: BEBC0180
	v_readlane_b32 s82, v3, 8                                  // 0000000066FC: D2890052 00011103
	s_and_b32 s82, s82, 0xffffff                               // 000000006704: 8652FF52 00FFFFFF
	s_cmp_lt_u32 s82, s66                                      // 00000000670C: BF0A4252
	s_cselect_b32 s20, s36, s60                                // 000000006710: 85143C24
	v_readlane_b32 s82, v3, 9                                  // 000000006714: D2890052 00011303
	s_and_b32 s82, s82, 0xffffff                               // 00000000671C: 8652FF52 00FFFFFF
	s_cmp_lt_u32 s82, s66                                      // 000000006724: BF0A4252
	s_cselect_b32 s21, s36, s60                                // 000000006728: 85153C24
	s_mov_b64 exec, s[20:21]                                   // 00000000672C: BEFE0114
	global_atomic_add_f32 v6, v132, s[8:9]                     // 000000006730: DD348000 00088406
	global_atomic_add_f32 v6, v136, s[8:9] offset:256          // 000000006738: DD348100 00088806
	global_atomic_add_f32 v6, v140, s[8:9] offset:512          // 000000006740: DD348200 00088C06
	global_atomic_add_f32 v6, v144, s[8:9] offset:768          // 000000006748: DD348300 00089006
	s_mov_b64 exec, s[36:37]                                   // 000000006750: BEFE0124
	v_mov_b32_e32 v6, v45                                      // 000000006754: 7E0C032D
	s_mov_b64 s[60:61], 0                                      // 000000006758: BEBC0180
	v_readlane_b32 s82, v3, 10                                 // 00000000675C: D2890052 00011503
	s_and_b32 s82, s82, 0xffffff                               // 000000006764: 8652FF52 00FFFFFF
	s_cmp_lt_u32 s82, s66                                      // 00000000676C: BF0A4252
	s_cselect_b32 s20, s36, s60                                // 000000006770: 85143C24
	v_readlane_b32 s82, v3, 11                                 // 000000006774: D2890052 00011703
	s_and_b32 s82, s82, 0xffffff                               // 00000000677C: 8652FF52 00FFFFFF
	s_cmp_lt_u32 s82, s66                                      // 000000006784: BF0A4252
	s_cselect_b32 s21, s36, s60                                // 000000006788: 85153C24
	s_mov_b64 exec, s[20:21]                                   // 00000000678C: BEFE0114
	global_atomic_add_f32 v6, v133, s[8:9]                     // 000000006790: DD348000 00088506
	global_atomic_add_f32 v6, v137, s[8:9] offset:256          // 000000006798: DD348100 00088906
	global_atomic_add_f32 v6, v141, s[8:9] offset:512          // 0000000067A0: DD348200 00088D06
	global_atomic_add_f32 v6, v145, s[8:9] offset:768          // 0000000067A8: DD348300 00089106
	s_mov_b64 exec, s[36:37]                                   // 0000000067B0: BEFE0124
	ds_write_b64 v20, v[102:103]                               // 0000000067B4: D89A0000 00006614
	ds_write_b64 v20, v[106:107] offset:8704                   // 0000000067BC: D89A2200 00006A14
	ds_write_b64 v20, v[110:111] offset:17408                  // 0000000067C4: D89A4400 00006E14
	ds_write_b64 v20, v[114:115] offset:2176                   // 0000000067CC: D89A0880 00007214
	ds_write_b64 v20, v[118:119] offset:10880                  // 0000000067D4: D89A2A80 00007614
	ds_write_b64 v20, v[122:123] offset:19584                  // 0000000067DC: D89A4C80 00007A14
	ds_write_b64 v20, v[126:127] offset:4352                   // 0000000067E4: D89A1100 00007E14
	ds_write_b64 v20, v[130:131] offset:13056                  // 0000000067EC: D89A3300 00008214
	ds_write_b64 v20, v[134:135] offset:21760                  // 0000000067F4: D89A5500 00008614
	ds_write_b64 v20, v[138:139] offset:6528                   // 0000000067FC: D89A1980 00008A14
	ds_write_b64 v20, v[142:143] offset:15232                  // 000000006804: D89A3B80 00008E14
	ds_write_b64 v20, v[146:147] offset:23936                  // 00000000680C: D89A5D80 00009214
	s_waitcnt lgkmcnt(0)                                       // 000000006814: BF8CC07F
	s_barrier                                                  // 000000006818: BF8A0000
	ds_read_b32 v102, v21                                      // 00000000681C: D86C0000 66000015
	ds_read_b32 v103, v21 offset:64                            // 000000006824: D86C0040 67000015
	ds_read_b32 v106, v21 offset:2176                          // 00000000682C: D86C0880 6A000015
	ds_read_b32 v107, v21 offset:2240                          // 000000006834: D86C08C0 6B000015
	ds_read_b32 v110, v21 offset:4352                          // 00000000683C: D86C1100 6E000015
	ds_read_b32 v111, v21 offset:4416                          // 000000006844: D86C1140 6F000015
	ds_read_b32 v114, v21 offset:6528                          // 00000000684C: D86C1980 72000015
	ds_read_b32 v115, v21 offset:6592                          // 000000006854: D86C19C0 73000015
	ds_read_b32 v118, v21 offset:8704                          // 00000000685C: D86C2200 76000015
	ds_read_b32 v119, v21 offset:8768                          // 000000006864: D86C2240 77000015
	ds_read_b32 v122, v21 offset:10880                         // 00000000686C: D86C2A80 7A000015
	ds_read_b32 v123, v21 offset:10944                         // 000000006874: D86C2AC0 7B000015
	ds_read_b32 v126, v21 offset:13056                         // 00000000687C: D86C3300 7E000015
	ds_read_b32 v127, v21 offset:13120                         // 000000006884: D86C3340 7F000015
	ds_read_b32 v130, v21 offset:15232                         // 00000000688C: D86C3B80 82000015
	ds_read_b32 v131, v21 offset:15296                         // 000000006894: D86C3BC0 83000015
	ds_read_b32 v134, v21 offset:17408                         // 00000000689C: D86C4400 86000015
	ds_read_b32 v135, v21 offset:17472                         // 0000000068A4: D86C4440 87000015
	ds_read_b32 v138, v21 offset:19584                         // 0000000068AC: D86C4C80 8A000015
	ds_read_b32 v139, v21 offset:19648                         // 0000000068B4: D86C4CC0 8B000015
	ds_read_b32 v142, v21 offset:21760                         // 0000000068BC: D86C5500 8E000015
	ds_read_b32 v143, v21 offset:21824                         // 0000000068C4: D86C5540 8F000015
	ds_read_b32 v146, v21 offset:23936                         // 0000000068CC: D86C5D80 92000015
	ds_read_b32 v147, v21 offset:24000                         // 0000000068D4: D86C5DC0 93000015
	s_waitcnt lgkmcnt(0)                                       // 0000000068DC: BF8CC07F
	v_mov_b32_e32 v7, 0                                        // 0000000068E0: 7E0E0280
	s_mov_b64 exec, s[36:37]                                   // 0000000068E4: BEFE0124
	v_mov_b32_e32 v6, v40                                      // 0000000068E8: 7E0C0328
	s_mov_b64 s[60:61], 0                                      // 0000000068EC: BEBC0180
	v_readlane_b32 s82, v3, 0                                  // 0000000068F0: D2890052 00010103
	s_and_b32 s82, s82, 0xffffff                               // 0000000068F8: 8652FF52 00FFFFFF
	s_cmp_lt_u32 s82, s66                                      // 000000006900: BF0A4252
	s_cselect_b32 s20, s36, s60                                // 000000006904: 85143C24
	v_readlane_b32 s82, v3, 1                                  // 000000006908: D2890052 00010303
	s_and_b32 s82, s82, 0xffffff                               // 000000006910: 8652FF52 00FFFFFF
	s_cmp_lt_u32 s82, s66                                      // 000000006918: BF0A4252
	s_cselect_b32 s21, s36, s60                                // 00000000691C: 85153C24
	s_mov_b64 exec, s[20:21]                                   // 000000006920: BEFE0114
	global_atomic_add_f32 v6, v102, s[8:9] offset:8            // 000000006924: DD348008 00086606
	global_atomic_add_f32 v6, v106, s[8:9] offset:264          // 00000000692C: DD348108 00086A06
	global_atomic_add_f32 v6, v110, s[8:9] offset:520          // 000000006934: DD348208 00086E06
	global_atomic_add_f32 v6, v114, s[8:9] offset:776          // 00000000693C: DD348308 00087206
	s_mov_b64 exec, s[36:37]                                   // 000000006944: BEFE0124
	v_mov_b32_e32 v6, v41                                      // 000000006948: 7E0C0329
	s_mov_b64 s[60:61], 0                                      // 00000000694C: BEBC0180
	v_readlane_b32 s82, v3, 2                                  // 000000006950: D2890052 00010503
	s_and_b32 s82, s82, 0xffffff                               // 000000006958: 8652FF52 00FFFFFF
	s_cmp_lt_u32 s82, s66                                      // 000000006960: BF0A4252
	s_cselect_b32 s20, s36, s60                                // 000000006964: 85143C24
	v_readlane_b32 s82, v3, 3                                  // 000000006968: D2890052 00010703
	s_and_b32 s82, s82, 0xffffff                               // 000000006970: 8652FF52 00FFFFFF
	s_cmp_lt_u32 s82, s66                                      // 000000006978: BF0A4252
	s_cselect_b32 s21, s36, s60                                // 00000000697C: 85153C24
	s_mov_b64 exec, s[20:21]                                   // 000000006980: BEFE0114
	global_atomic_add_f32 v6, v103, s[8:9] offset:8            // 000000006984: DD348008 00086706
	global_atomic_add_f32 v6, v107, s[8:9] offset:264          // 00000000698C: DD348108 00086B06
	global_atomic_add_f32 v6, v111, s[8:9] offset:520          // 000000006994: DD348208 00086F06
	global_atomic_add_f32 v6, v115, s[8:9] offset:776          // 00000000699C: DD348308 00087306
	s_mov_b64 exec, s[36:37]                                   // 0000000069A4: BEFE0124
	v_mov_b32_e32 v6, v42                                      // 0000000069A8: 7E0C032A
	s_mov_b64 s[60:61], 0                                      // 0000000069AC: BEBC0180
	v_readlane_b32 s82, v3, 4                                  // 0000000069B0: D2890052 00010903
	s_and_b32 s82, s82, 0xffffff                               // 0000000069B8: 8652FF52 00FFFFFF
	s_cmp_lt_u32 s82, s66                                      // 0000000069C0: BF0A4252
	s_cselect_b32 s20, s36, s60                                // 0000000069C4: 85143C24
	v_readlane_b32 s82, v3, 5                                  // 0000000069C8: D2890052 00010B03
	s_and_b32 s82, s82, 0xffffff                               // 0000000069D0: 8652FF52 00FFFFFF
	s_cmp_lt_u32 s82, s66                                      // 0000000069D8: BF0A4252
	s_cselect_b32 s21, s36, s60                                // 0000000069DC: 85153C24
	s_mov_b64 exec, s[20:21]                                   // 0000000069E0: BEFE0114
	global_atomic_add_f32 v6, v118, s[8:9] offset:8            // 0000000069E4: DD348008 00087606
	global_atomic_add_f32 v6, v122, s[8:9] offset:264          // 0000000069EC: DD348108 00087A06
	global_atomic_add_f32 v6, v126, s[8:9] offset:520          // 0000000069F4: DD348208 00087E06
	global_atomic_add_f32 v6, v130, s[8:9] offset:776          // 0000000069FC: DD348308 00088206
	s_mov_b64 exec, s[36:37]                                   // 000000006A04: BEFE0124
	v_mov_b32_e32 v6, v43                                      // 000000006A08: 7E0C032B
	s_mov_b64 s[60:61], 0                                      // 000000006A0C: BEBC0180
	v_readlane_b32 s82, v3, 6                                  // 000000006A10: D2890052 00010D03
	s_and_b32 s82, s82, 0xffffff                               // 000000006A18: 8652FF52 00FFFFFF
	s_cmp_lt_u32 s82, s66                                      // 000000006A20: BF0A4252
	s_cselect_b32 s20, s36, s60                                // 000000006A24: 85143C24
	v_readlane_b32 s82, v3, 7                                  // 000000006A28: D2890052 00010F03
	s_and_b32 s82, s82, 0xffffff                               // 000000006A30: 8652FF52 00FFFFFF
	s_cmp_lt_u32 s82, s66                                      // 000000006A38: BF0A4252
	s_cselect_b32 s21, s36, s60                                // 000000006A3C: 85153C24
	s_mov_b64 exec, s[20:21]                                   // 000000006A40: BEFE0114
	global_atomic_add_f32 v6, v119, s[8:9] offset:8            // 000000006A44: DD348008 00087706
	global_atomic_add_f32 v6, v123, s[8:9] offset:264          // 000000006A4C: DD348108 00087B06
	global_atomic_add_f32 v6, v127, s[8:9] offset:520          // 000000006A54: DD348208 00087F06
	global_atomic_add_f32 v6, v131, s[8:9] offset:776          // 000000006A5C: DD348308 00088306
	s_mov_b64 exec, s[36:37]                                   // 000000006A64: BEFE0124
	v_mov_b32_e32 v6, v44                                      // 000000006A68: 7E0C032C
	s_mov_b64 s[60:61], 0                                      // 000000006A6C: BEBC0180
	v_readlane_b32 s82, v3, 8                                  // 000000006A70: D2890052 00011103
	s_and_b32 s82, s82, 0xffffff                               // 000000006A78: 8652FF52 00FFFFFF
	s_cmp_lt_u32 s82, s66                                      // 000000006A80: BF0A4252
	s_cselect_b32 s20, s36, s60                                // 000000006A84: 85143C24
	v_readlane_b32 s82, v3, 9                                  // 000000006A88: D2890052 00011303
	s_and_b32 s82, s82, 0xffffff                               // 000000006A90: 8652FF52 00FFFFFF
	s_cmp_lt_u32 s82, s66                                      // 000000006A98: BF0A4252
	s_cselect_b32 s21, s36, s60                                // 000000006A9C: 85153C24
	s_mov_b64 exec, s[20:21]                                   // 000000006AA0: BEFE0114
	global_atomic_add_f32 v6, v134, s[8:9] offset:8            // 000000006AA4: DD348008 00088606
	global_atomic_add_f32 v6, v138, s[8:9] offset:264          // 000000006AAC: DD348108 00088A06
	global_atomic_add_f32 v6, v142, s[8:9] offset:520          // 000000006AB4: DD348208 00088E06
	global_atomic_add_f32 v6, v146, s[8:9] offset:776          // 000000006ABC: DD348308 00089206
	s_mov_b64 exec, s[36:37]                                   // 000000006AC4: BEFE0124
	v_mov_b32_e32 v6, v45                                      // 000000006AC8: 7E0C032D
	s_mov_b64 s[60:61], 0                                      // 000000006ACC: BEBC0180
	v_readlane_b32 s82, v3, 10                                 // 000000006AD0: D2890052 00011503
	s_and_b32 s82, s82, 0xffffff                               // 000000006AD8: 8652FF52 00FFFFFF
	s_cmp_lt_u32 s82, s66                                      // 000000006AE0: BF0A4252
	s_cselect_b32 s20, s36, s60                                // 000000006AE4: 85143C24
	v_readlane_b32 s82, v3, 11                                 // 000000006AE8: D2890052 00011703
	s_and_b32 s82, s82, 0xffffff                               // 000000006AF0: 8652FF52 00FFFFFF
	s_cmp_lt_u32 s82, s66                                      // 000000006AF8: BF0A4252
	s_cselect_b32 s21, s36, s60                                // 000000006AFC: 85153C24
	s_mov_b64 exec, s[20:21]                                   // 000000006B00: BEFE0114
	global_atomic_add_f32 v6, v135, s[8:9] offset:8            // 000000006B04: DD348008 00088706
	global_atomic_add_f32 v6, v139, s[8:9] offset:264          // 000000006B0C: DD348108 00088B06
	global_atomic_add_f32 v6, v143, s[8:9] offset:520          // 000000006B14: DD348208 00088F06
	global_atomic_add_f32 v6, v147, s[8:9] offset:776          // 000000006B1C: DD348308 00089306
	s_mov_b64 exec, s[36:37]                                   // 000000006B24: BEFE0124
	s_branch label_1E4E                                        // 000000006B28: BF820E00

0000000000006b2c <label_104E>:
	s_waitcnt vmcnt(6) lgkmcnt(0)                              // 000000006B2C: BF8C0076
	s_barrier                                                  // 000000006B30: BF8A0000
	v_mfma_i32_16x16x32_i8 v[52:55], a[48:49], a[0:1], v[52:55]// 000000006B34: D3D70034 1CD20130
	buffer_load_dwordx4 a[80:83], v46, s[84:87], 0 offen       // 000000006B3C: E05C1000 8095502E
	v_mfma_i32_16x16x32_i8 v[52:55], a[50:51], a[2:3], v[52:55]// 000000006B44: D3D70034 1CD20532
	v_mfma_i32_16x16x32_i8 v[52:55], a[52:53], a[4:5], v[52:55]// 000000006B4C: D3D70034 1CD20934
	v_mfma_i32_16x16x32_i8 v[52:55], a[54:55], a[6:7], v[52:55]// 000000006B54: D3D70034 1CD20D36
	v_mfma_i32_16x16x32_i8 v[56:59], a[48:49], a[8:9], v[56:59]// 000000006B5C: D3D70038 1CE21130
	buffer_load_dwordx4 a[84:87], v46, s[84:87], 0 offen offset:1024// 000000006B64: E05C1400 8095542E
	v_mfma_i32_16x16x32_i8 v[56:59], a[50:51], a[10:11], v[56:59]// 000000006B6C: D3D70038 1CE21532
	v_mfma_i32_16x16x32_i8 v[56:59], a[52:53], a[12:13], v[56:59]// 000000006B74: D3D70038 1CE21934
	v_mfma_i32_16x16x32_i8 v[56:59], a[54:55], a[14:15], v[56:59]// 000000006B7C: D3D70038 1CE21D36
	v_mfma_i32_16x16x32_i8 v[60:63], a[48:49], a[16:17], v[60:63]// 000000006B84: D3D7003C 1CF22130
	buffer_load_dwordx4 a[88:91], v47, s[84:87], 0 offen       // 000000006B8C: E05C1000 8095582F
	v_mfma_i32_16x16x32_i8 v[60:63], a[50:51], a[18:19], v[60:63]// 000000006B94: D3D7003C 1CF22532
	v_mfma_i32_16x16x32_i8 v[60:63], a[52:53], a[20:21], v[60:63]// 000000006B9C: D3D7003C 1CF22934
	v_mfma_i32_16x16x32_i8 v[60:63], a[54:55], a[22:23], v[60:63]// 000000006BA4: D3D7003C 1CF22D36
	s_waitcnt vmcnt(7)                                         // 000000006BAC: BF8C0F77
	v_mfma_i32_16x16x32_i8 v[64:67], a[56:57], a[0:1], v[64:67]// 000000006BB0: D3D70040 1D020138
	buffer_load_dwordx4 a[92:95], v47, s[84:87], 0 offen offset:1024// 000000006BB8: E05C1400 80955C2F
	v_mfma_i32_16x16x32_i8 v[64:67], a[58:59], a[2:3], v[64:67]// 000000006BC0: D3D70040 1D02053A
	v_mfma_i32_16x16x32_i8 v[64:67], a[60:61], a[4:5], v[64:67]// 000000006BC8: D3D70040 1D02093C
	v_mfma_i32_16x16x32_i8 v[64:67], a[62:63], a[6:7], v[64:67]// 000000006BD0: D3D70040 1D020D3E
	v_mfma_i32_16x16x32_i8 v[68:71], a[56:57], a[8:9], v[68:71]// 000000006BD8: D3D70044 1D121138
	buffer_load_dwordx4 a[96:99], v48, s[84:87], 0 offen       // 000000006BE0: E05C1000 80956030
	v_mfma_i32_16x16x32_i8 v[68:71], a[58:59], a[10:11], v[68:71]// 000000006BE8: D3D70044 1D12153A
	v_mfma_i32_16x16x32_i8 v[68:71], a[60:61], a[12:13], v[68:71]// 000000006BF0: D3D70044 1D12193C
	v_mfma_i32_16x16x32_i8 v[68:71], a[62:63], a[14:15], v[68:71]// 000000006BF8: D3D70044 1D121D3E
	v_mfma_i32_16x16x32_i8 v[72:75], a[56:57], a[16:17], v[72:75]// 000000006C00: D3D70048 1D222138
	buffer_load_dwordx4 a[100:103], v48, s[84:87], 0 offen offset:1024// 000000006C08: E05C1400 80956430
	v_mfma_i32_16x16x32_i8 v[72:75], a[58:59], a[18:19], v[72:75]// 000000006C10: D3D70048 1D22253A
	v_mfma_i32_16x16x32_i8 v[72:75], a[60:61], a[20:21], v[72:75]// 000000006C18: D3D70048 1D22293C
	v_mfma_i32_16x16x32_i8 v[72:75], a[62:63], a[22:23], v[72:75]// 000000006C20: D3D70048 1D222D3E
	s_waitcnt vmcnt(8)                                         // 000000006C28: BF8C0F78
	v_mfma_i32_16x16x32_i8 v[76:79], a[64:65], a[0:1], v[76:79]// 000000006C2C: D3D7004C 1D320140
	buffer_load_dwordx4 a[104:107], v49, s[84:87], 0 offen     // 000000006C34: E05C1000 80956831
	v_mfma_i32_16x16x32_i8 v[76:79], a[66:67], a[2:3], v[76:79]// 000000006C3C: D3D7004C 1D320542
	v_mfma_i32_16x16x32_i8 v[76:79], a[68:69], a[4:5], v[76:79]// 000000006C44: D3D7004C 1D320944
	v_mfma_i32_16x16x32_i8 v[76:79], a[70:71], a[6:7], v[76:79]// 000000006C4C: D3D7004C 1D320D46
	v_mfma_i32_16x16x32_i8 v[80:83], a[64:65], a[8:9], v[80:83]// 000000006C54: D3D70050 1D421140
	buffer_load_dwordx4 a[108:111], v49, s[84:87], 0 offen offset:1024// 000000006C5C: E05C1400 80956C31
	buffer_load_dword v40, s[20:23], 0 offen lds               // 000000006C64: E0511000 80050028
	s_add_u32 m0, 0x100, s48                                   // 000000006C6C: 807C30FF 00000100
	v_mfma_i32_16x16x32_i8 v[80:83], a[66:67], a[10:11], v[80:83]// 000000006C74: D3D70050 1D421542
	v_mfma_i32_16x16x32_i8 v[80:83], a[68:69], a[12:13], v[80:83]// 000000006C7C: D3D70050 1D421944
	buffer_load_dword v41, s[20:23], 0 offen lds               // 000000006C84: E0511000 80050029
	s_add_u32 m0, 0x200, s48                                   // 000000006C8C: 807C30FF 00000200
	v_mfma_i32_16x16x32_i8 v[80:83], a[70:71], a[14:15], v[80:83]// 000000006C94: D3D70050 1D421D46
	v_mfma_i32_16x16x32_i8 v[84:87], a[64:65], a[16:17], v[84:87]// 000000006C9C: D3D70054 1D522140
	buffer_load_dword v42, s[20:23], 0 offen lds               // 000000006CA4: E0511000 8005002A
	s_add_u32 m0, 0x300, s48                                   // 000000006CAC: 807C30FF 00000300
	v_mfma_i32_16x16x32_i8 v[84:87], a[66:67], a[18:19], v[84:87]// 000000006CB4: D3D70054 1D522542
	v_mfma_i32_16x16x32_i8 v[84:87], a[68:69], a[20:21], v[84:87]// 000000006CBC: D3D70054 1D522944
	buffer_load_dword v43, s[20:23], 0 offen lds               // 000000006CC4: E0511000 8005002B
	s_add_u32 m0, 0x400, s48                                   // 000000006CCC: 807C30FF 00000400
	v_mfma_i32_16x16x32_i8 v[84:87], a[70:71], a[22:23], v[84:87]// 000000006CD4: D3D70054 1D522D46
	s_waitcnt vmcnt(12)                                        // 000000006CDC: BF8C0F7C
	v_mfma_i32_16x16x32_i8 v[88:91], a[72:73], a[0:1], v[88:91]// 000000006CE0: D3D70058 1D620148
	buffer_load_dword v44, s[20:23], 0 offen lds               // 000000006CE8: E0511000 8005002C
	s_add_u32 m0, 0x500, s48                                   // 000000006CF0: 807C30FF 00000500
	v_mfma_i32_16x16x32_i8 v[88:91], a[74:75], a[2:3], v[88:91]// 000000006CF8: D3D70058 1D62054A
	v_mfma_i32_16x16x32_i8 v[88:91], a[76:77], a[4:5], v[88:91]// 000000006D00: D3D70058 1D62094C
	buffer_load_dword v45, s[20:23], 0 offen lds               // 000000006D08: E0511000 8005002D
	s_add_u32 m0, 0, s49                                       // 000000006D10: 807C3180
	v_mfma_i32_16x16x32_i8 v[88:91], a[78:79], a[6:7], v[88:91]// 000000006D14: D3D70058 1D620D4E
	v_mfma_i32_16x16x32_i8 v[92:95], a[72:73], a[8:9], v[92:95]// 000000006D1C: D3D7005C 1D721148
	v_mfma_i32_16x16x32_i8 v[92:95], a[74:75], a[10:11], v[92:95]// 000000006D24: D3D7005C 1D72154A
	v_mfma_i32_16x16x32_i8 v[92:95], a[76:77], a[12:13], v[92:95]// 000000006D2C: D3D7005C 1D72194C
	v_mfma_i32_16x16x32_i8 v[92:95], a[78:79], a[14:15], v[92:95]// 000000006D34: D3D7005C 1D721D4E
	v_mfma_i32_16x16x32_i8 v[96:99], a[72:73], a[16:17], v[96:99]// 000000006D3C: D3D70060 1D822148
	v_mfma_i32_16x16x32_i8 v[96:99], a[74:75], a[18:19], v[96:99]// 000000006D44: D3D70060 1D82254A
	s_add_u32 s60, 0x80, s80                                   // 000000006D4C: 803C50FF 00000080
	s_cmp_lt_u32 s60, s81                                      // 000000006D54: BF0A513C
	s_cselect_b32 s83, s83, 0                                  // 000000006D58: 85538053
	v_mfma_i32_16x16x32_i8 v[96:99], a[76:77], a[20:21], v[96:99]// 000000006D5C: D3D70060 1D82294C
	v_mfma_i32_16x16x32_i8 v[96:99], a[78:79], a[22:23], v[96:99]// 000000006D64: D3D70060 1D822D4E
	s_waitcnt vmcnt(6)                                         // 000000006D6C: BF8C0F76
	v_mfma_i32_16x16x32_i8 v[100:103], a[80:81], a[0:1], v[100:103]// 000000006D70: D3D70064 1D920150
	buffer_load_dwordx4 a[48:51], v46, s[24:27], 0 offen       // 000000006D78: E05C1000 8086302E
	v_mfma_i32_16x16x32_i8 v[100:103], a[82:83], a[2:3], v[100:103]// 000000006D80: D3D70064 1D920552
	v_mfma_i32_16x16x32_i8 v[100:103], a[84:85], a[4:5], v[100:103]// 000000006D88: D3D70064 1D920954
	ds_read_b128 a[24:27], v2 offset:6272                      // 000000006D90: DBFE1880 18000002
	ds_read_b128 a[28:31], v2 offset:6336                      // 000000006D98: DBFE18C0 1C000002
	v_mfma_i32_16x16x32_i8 v[100:103], a[86:87], a[6:7], v[100:103]// 000000006DA0: D3D70064 1D920D56
	v_mfma_i32_16x16x32_i8 v[112:115], a[88:89], a[0:1], v[112:115]// 000000006DA8: D3D70070 1DC20158
	buffer_load_dwordx4 a[52:55], v46, s[24:27], 0 offen offset:1024// 000000006DB0: E05C1400 8086342E
	v_mfma_i32_16x16x32_i8 v[112:115], a[90:91], a[2:3], v[112:115]// 000000006DB8: D3D70070 1DC2055A
	v_mfma_i32_16x16x32_i8 v[112:115], a[92:93], a[4:5], v[112:115]// 000000006DC0: D3D70070 1DC2095C
	ds_read_b128 a[32:35], v2 offset:6784                      // 000000006DC8: DBFE1A80 20000002
	ds_read_b128 a[36:39], v2 offset:6848                      // 000000006DD0: DBFE1AC0 24000002
	v_mfma_i32_16x16x32_i8 v[112:115], a[94:95], a[6:7], v[112:115]// 000000006DD8: D3D70070 1DC20D5E
	v_mfma_i32_16x16x32_i8 v[124:127], a[96:97], a[0:1], v[124:127]// 000000006DE0: D3D7007C 1DF20160
	buffer_load_dwordx4 a[56:59], v47, s[24:27], 0 offen       // 000000006DE8: E05C1000 8086382F
	v_mfma_i32_16x16x32_i8 v[124:127], a[98:99], a[2:3], v[124:127]// 000000006DF0: D3D7007C 1DF20562
	v_mfma_i32_16x16x32_i8 v[124:127], a[100:101], a[4:5], v[124:127]// 000000006DF8: D3D7007C 1DF20964
	ds_read_b128 a[40:43], v2 offset:7296                      // 000000006E00: DBFE1C80 28000002
	ds_read_b128 a[44:47], v2 offset:7360                      // 000000006E08: DBFE1CC0 2C000002
	v_mfma_i32_16x16x32_i8 v[124:127], a[102:103], a[6:7], v[124:127]// 000000006E10: D3D7007C 1DF20D66
	v_mfma_i32_16x16x32_i8 v[136:139], a[104:105], a[0:1], v[136:139]// 000000006E18: D3D70088 1E220168
	buffer_load_dwordx4 a[60:63], v47, s[24:27], 0 offen offset:1024// 000000006E20: E05C1400 80863C2F
	v_mfma_i32_16x16x32_i8 v[136:139], a[106:107], a[2:3], v[136:139]// 000000006E28: D3D70088 1E22056A
	v_mfma_i32_16x16x32_i8 v[136:139], a[108:109], a[4:5], v[136:139]// 000000006E30: D3D70088 1E22096C
	v_mfma_i32_16x16x32_i8 v[136:139], a[110:111], a[6:7], v[136:139]// 000000006E38: D3D70088 1E220D6E
	v_mfma_i32_16x16x32_i8 v[104:107], a[80:81], a[8:9], v[104:107]// 000000006E40: D3D70068 1DA21150
	buffer_load_dwordx4 a[64:67], v48, s[24:27], 0 offen       // 000000006E48: E05C1000 80864030
	v_mfma_i32_16x16x32_i8 v[104:107], a[82:83], a[10:11], v[104:107]// 000000006E50: D3D70068 1DA21552
	v_mfma_i32_16x16x32_i8 v[104:107], a[84:85], a[12:13], v[104:107]// 000000006E58: D3D70068 1DA21954
	v_mfma_i32_16x16x32_i8 v[104:107], a[86:87], a[14:15], v[104:107]// 000000006E60: D3D70068 1DA21D56
	v_mfma_i32_16x16x32_i8 v[116:119], a[88:89], a[8:9], v[116:119]// 000000006E68: D3D70074 1DD21158
	buffer_load_dwordx4 a[68:71], v48, s[24:27], 0 offen offset:1024// 000000006E70: E05C1400 80864430
	v_mfma_i32_16x16x32_i8 v[116:119], a[90:91], a[10:11], v[116:119]// 000000006E78: D3D70074 1DD2155A
	v_mfma_i32_16x16x32_i8 v[116:119], a[92:93], a[12:13], v[116:119]// 000000006E80: D3D70074 1DD2195C
	v_mfma_i32_16x16x32_i8 v[116:119], a[94:95], a[14:15], v[116:119]// 000000006E88: D3D70074 1DD21D5E
	v_mfma_i32_16x16x32_i8 v[128:131], a[96:97], a[8:9], v[128:131]// 000000006E90: D3D70080 1E021160
	buffer_load_dwordx4 a[72:75], v49, s[24:27], 0 offen       // 000000006E98: E05C1000 80864831
	v_mfma_i32_16x16x32_i8 v[128:131], a[98:99], a[10:11], v[128:131]// 000000006EA0: D3D70080 1E021562
	v_mfma_i32_16x16x32_i8 v[128:131], a[100:101], a[12:13], v[128:131]// 000000006EA8: D3D70080 1E021964
	v_mfma_i32_16x16x32_i8 v[128:131], a[102:103], a[14:15], v[128:131]// 000000006EB0: D3D70080 1E021D66
	v_mfma_i32_16x16x32_i8 v[140:143], a[104:105], a[8:9], v[140:143]// 000000006EB8: D3D7008C 1E321168
	buffer_load_dwordx4 a[76:79], v49, s[24:27], 0 offen offset:1024// 000000006EC0: E05C1400 80864C31
	v_mfma_i32_16x16x32_i8 v[140:143], a[106:107], a[10:11], v[140:143]// 000000006EC8: D3D7008C 1E32156A
	v_mfma_i32_16x16x32_i8 v[140:143], a[108:109], a[12:13], v[140:143]// 000000006ED0: D3D7008C 1E32196C
	v_mfma_i32_16x16x32_i8 v[140:143], a[110:111], a[14:15], v[140:143]// 000000006ED8: D3D7008C 1E321D6E
	v_mfma_i32_16x16x32_i8 v[108:111], a[80:81], a[16:17], v[108:111]// 000000006EE0: D3D7006C 1DB22150
	v_mfma_i32_16x16x32_i8 v[108:111], a[82:83], a[18:19], v[108:111]// 000000006EE8: D3D7006C 1DB22552
	v_mfma_i32_16x16x32_i8 v[108:111], a[84:85], a[20:21], v[108:111]// 000000006EF0: D3D7006C 1DB22954
	v_mfma_i32_16x16x32_i8 v[108:111], a[86:87], a[22:23], v[108:111]// 000000006EF8: D3D7006C 1DB22D56
	v_mfma_i32_16x16x32_i8 v[120:123], a[88:89], a[16:17], v[120:123]// 000000006F00: D3D70078 1DE22158
	v_mfma_i32_16x16x32_i8 v[120:123], a[90:91], a[18:19], v[120:123]// 000000006F08: D3D70078 1DE2255A
	v_mfma_i32_16x16x32_i8 v[120:123], a[92:93], a[20:21], v[120:123]// 000000006F10: D3D70078 1DE2295C
	v_mfma_i32_16x16x32_i8 v[120:123], a[94:95], a[22:23], v[120:123]// 000000006F18: D3D70078 1DE22D5E
	v_mfma_i32_16x16x32_i8 v[132:135], a[96:97], a[16:17], v[132:135]// 000000006F20: D3D70084 1E122160
	v_mfma_i32_16x16x32_i8 v[132:135], a[98:99], a[18:19], v[132:135]// 000000006F28: D3D70084 1E122562
	v_mfma_i32_16x16x32_i8 v[132:135], a[100:101], a[20:21], v[132:135]// 000000006F30: D3D70084 1E122964
	s_add_u32 s60, 0x180, s80                                  // 000000006F38: 803C50FF 00000180
	s_cmp_lt_u32 s60, s81                                      // 000000006F40: BF0A513C
	s_cselect_b32 s57, s57, 0                                  // 000000006F44: 85398039
	v_mfma_i32_16x16x32_i8 v[132:135], a[102:103], a[22:23], v[132:135]// 000000006F48: D3D70084 1E122D66
	s_add_u32 s60, 0x100, s80                                  // 000000006F50: 803C50FF 00000100
	s_cmp_lt_u32 s60, s81                                      // 000000006F58: BF0A513C
	s_cselect_b32 s58, s58, 0                                  // 000000006F5C: 853A803A
	v_mfma_i32_16x16x32_i8 v[144:147], a[104:105], a[16:17], v[144:147]// 000000006F60: D3D70090 1E422168
	s_add_u32 s24, s58, s24                                    // 000000006F68: 8018183A
	s_addc_u32 s25, 0, s25                                     // 000000006F6C: 82191980
	v_mfma_i32_16x16x32_i8 v[144:147], a[106:107], a[18:19], v[144:147]// 000000006F70: D3D70090 1E42256A
	s_add_u32 s20, s57, s20                                    // 000000006F78: 80141439
	s_addc_u32 s21, 0, s21                                     // 000000006F7C: 82151580
	v_mfma_i32_16x16x32_i8 v[144:147], a[108:109], a[20:21], v[144:147]// 000000006F80: D3D70090 1E42296C
	s_add_u32 s84, s83, s84                                    // 000000006F88: 80545453
	s_addc_u32 s85, 0, s85                                     // 000000006F8C: 82555580
	v_mfma_i32_16x16x32_i8 v[144:147], a[110:111], a[22:23], v[144:147]// 000000006F90: D3D70090 1E422D6E
	s_addk_i32 s80, 0x80                                       // 000000006F98: B7500080
	s_cmp_lt_i32 s80, s81                                      // 000000006F9C: BF045150
	s_cbranch_scc0 label_128B                                  // 000000006FA0: BF84011F
	s_waitcnt vmcnt(6) lgkmcnt(0)                              // 000000006FA4: BF8C0076
	s_barrier                                                  // 000000006FA8: BF8A0000
	v_mfma_i32_16x16x32_i8 v[52:55], a[48:49], a[24:25], v[52:55]// 000000006FAC: D3D70034 1CD23130
	buffer_load_dwordx4 a[80:83], v46, s[84:87], 0 offen       // 000000006FB4: E05C1000 8095502E
	v_mfma_i32_16x16x32_i8 v[52:55], a[50:51], a[26:27], v[52:55]// 000000006FBC: D3D70034 1CD23532
	v_mfma_i32_16x16x32_i8 v[52:55], a[52:53], a[28:29], v[52:55]// 000000006FC4: D3D70034 1CD23934
	v_mfma_i32_16x16x32_i8 v[52:55], a[54:55], a[30:31], v[52:55]// 000000006FCC: D3D70034 1CD23D36
	v_mfma_i32_16x16x32_i8 v[56:59], a[48:49], a[32:33], v[56:59]// 000000006FD4: D3D70038 1CE24130
	buffer_load_dwordx4 a[84:87], v46, s[84:87], 0 offen offset:1024// 000000006FDC: E05C1400 8095542E
	v_mfma_i32_16x16x32_i8 v[56:59], a[50:51], a[34:35], v[56:59]// 000000006FE4: D3D70038 1CE24532
	v_mfma_i32_16x16x32_i8 v[56:59], a[52:53], a[36:37], v[56:59]// 000000006FEC: D3D70038 1CE24934
	v_mfma_i32_16x16x32_i8 v[56:59], a[54:55], a[38:39], v[56:59]// 000000006FF4: D3D70038 1CE24D36
	v_mfma_i32_16x16x32_i8 v[60:63], a[48:49], a[40:41], v[60:63]// 000000006FFC: D3D7003C 1CF25130
	buffer_load_dwordx4 a[88:91], v47, s[84:87], 0 offen       // 000000007004: E05C1000 8095582F
	v_mfma_i32_16x16x32_i8 v[60:63], a[50:51], a[42:43], v[60:63]// 00000000700C: D3D7003C 1CF25532
	v_mfma_i32_16x16x32_i8 v[60:63], a[52:53], a[44:45], v[60:63]// 000000007014: D3D7003C 1CF25934
	v_mfma_i32_16x16x32_i8 v[60:63], a[54:55], a[46:47], v[60:63]// 00000000701C: D3D7003C 1CF25D36
	s_waitcnt vmcnt(7)                                         // 000000007024: BF8C0F77
	v_mfma_i32_16x16x32_i8 v[64:67], a[56:57], a[24:25], v[64:67]// 000000007028: D3D70040 1D023138
	buffer_load_dwordx4 a[92:95], v47, s[84:87], 0 offen offset:1024// 000000007030: E05C1400 80955C2F
	v_mfma_i32_16x16x32_i8 v[64:67], a[58:59], a[26:27], v[64:67]// 000000007038: D3D70040 1D02353A
	v_mfma_i32_16x16x32_i8 v[64:67], a[60:61], a[28:29], v[64:67]// 000000007040: D3D70040 1D02393C
	v_mfma_i32_16x16x32_i8 v[64:67], a[62:63], a[30:31], v[64:67]// 000000007048: D3D70040 1D023D3E
	v_mfma_i32_16x16x32_i8 v[68:71], a[56:57], a[32:33], v[68:71]// 000000007050: D3D70044 1D124138
	buffer_load_dwordx4 a[96:99], v48, s[84:87], 0 offen       // 000000007058: E05C1000 80956030
	v_mfma_i32_16x16x32_i8 v[68:71], a[58:59], a[34:35], v[68:71]// 000000007060: D3D70044 1D12453A
	v_mfma_i32_16x16x32_i8 v[68:71], a[60:61], a[36:37], v[68:71]// 000000007068: D3D70044 1D12493C
	v_mfma_i32_16x16x32_i8 v[68:71], a[62:63], a[38:39], v[68:71]// 000000007070: D3D70044 1D124D3E
	v_mfma_i32_16x16x32_i8 v[72:75], a[56:57], a[40:41], v[72:75]// 000000007078: D3D70048 1D225138
	buffer_load_dwordx4 a[100:103], v48, s[84:87], 0 offen offset:1024// 000000007080: E05C1400 80956430
	v_mfma_i32_16x16x32_i8 v[72:75], a[58:59], a[42:43], v[72:75]// 000000007088: D3D70048 1D22553A
	v_mfma_i32_16x16x32_i8 v[72:75], a[60:61], a[44:45], v[72:75]// 000000007090: D3D70048 1D22593C
	v_mfma_i32_16x16x32_i8 v[72:75], a[62:63], a[46:47], v[72:75]// 000000007098: D3D70048 1D225D3E
	s_waitcnt vmcnt(8)                                         // 0000000070A0: BF8C0F78
	v_mfma_i32_16x16x32_i8 v[76:79], a[64:65], a[24:25], v[76:79]// 0000000070A4: D3D7004C 1D323140
	buffer_load_dwordx4 a[104:107], v49, s[84:87], 0 offen     // 0000000070AC: E05C1000 80956831
	v_mfma_i32_16x16x32_i8 v[76:79], a[66:67], a[26:27], v[76:79]// 0000000070B4: D3D7004C 1D323542
	v_mfma_i32_16x16x32_i8 v[76:79], a[68:69], a[28:29], v[76:79]// 0000000070BC: D3D7004C 1D323944
	v_mfma_i32_16x16x32_i8 v[76:79], a[70:71], a[30:31], v[76:79]// 0000000070C4: D3D7004C 1D323D46
	v_mfma_i32_16x16x32_i8 v[80:83], a[64:65], a[32:33], v[80:83]// 0000000070CC: D3D70050 1D424140
	buffer_load_dwordx4 a[108:111], v49, s[84:87], 0 offen offset:1024// 0000000070D4: E05C1400 80956C31
	buffer_load_dword v40, s[20:23], 0 offen lds               // 0000000070DC: E0511000 80050028
	s_add_u32 m0, 0x100, s49                                   // 0000000070E4: 807C31FF 00000100
	v_mfma_i32_16x16x32_i8 v[80:83], a[66:67], a[34:35], v[80:83]// 0000000070EC: D3D70050 1D424542
	v_mfma_i32_16x16x32_i8 v[80:83], a[68:69], a[36:37], v[80:83]// 0000000070F4: D3D70050 1D424944
	buffer_load_dword v41, s[20:23], 0 offen lds               // 0000000070FC: E0511000 80050029
	s_add_u32 m0, 0x200, s49                                   // 000000007104: 807C31FF 00000200
	v_mfma_i32_16x16x32_i8 v[80:83], a[70:71], a[38:39], v[80:83]// 00000000710C: D3D70050 1D424D46
	v_mfma_i32_16x16x32_i8 v[84:87], a[64:65], a[40:41], v[84:87]// 000000007114: D3D70054 1D525140
	buffer_load_dword v42, s[20:23], 0 offen lds               // 00000000711C: E0511000 8005002A
	s_add_u32 m0, 0x300, s49                                   // 000000007124: 807C31FF 00000300
	v_mfma_i32_16x16x32_i8 v[84:87], a[66:67], a[42:43], v[84:87]// 00000000712C: D3D70054 1D525542
	v_mfma_i32_16x16x32_i8 v[84:87], a[68:69], a[44:45], v[84:87]// 000000007134: D3D70054 1D525944
	buffer_load_dword v43, s[20:23], 0 offen lds               // 00000000713C: E0511000 8005002B
	s_add_u32 m0, 0x400, s49                                   // 000000007144: 807C31FF 00000400
	v_mfma_i32_16x16x32_i8 v[84:87], a[70:71], a[46:47], v[84:87]// 00000000714C: D3D70054 1D525D46
	s_waitcnt vmcnt(12)                                        // 000000007154: BF8C0F7C
	v_mfma_i32_16x16x32_i8 v[88:91], a[72:73], a[24:25], v[88:91]// 000000007158: D3D70058 1D623148
	buffer_load_dword v44, s[20:23], 0 offen lds               // 000000007160: E0511000 8005002C
	s_add_u32 m0, 0x500, s49                                   // 000000007168: 807C31FF 00000500
	v_mfma_i32_16x16x32_i8 v[88:91], a[74:75], a[26:27], v[88:91]// 000000007170: D3D70058 1D62354A
	v_mfma_i32_16x16x32_i8 v[88:91], a[76:77], a[28:29], v[88:91]// 000000007178: D3D70058 1D62394C
	buffer_load_dword v45, s[20:23], 0 offen lds               // 000000007180: E0511000 8005002D
	s_add_u32 m0, 0, s48                                       // 000000007188: 807C3080
	v_mfma_i32_16x16x32_i8 v[88:91], a[78:79], a[30:31], v[88:91]// 00000000718C: D3D70058 1D623D4E
	v_mfma_i32_16x16x32_i8 v[92:95], a[72:73], a[32:33], v[92:95]// 000000007194: D3D7005C 1D724148
	v_mfma_i32_16x16x32_i8 v[92:95], a[74:75], a[34:35], v[92:95]// 00000000719C: D3D7005C 1D72454A
	v_mfma_i32_16x16x32_i8 v[92:95], a[76:77], a[36:37], v[92:95]// 0000000071A4: D3D7005C 1D72494C
	v_mfma_i32_16x16x32_i8 v[92:95], a[78:79], a[38:39], v[92:95]// 0000000071AC: D3D7005C 1D724D4E
	v_mfma_i32_16x16x32_i8 v[96:99], a[72:73], a[40:41], v[96:99]// 0000000071B4: D3D70060 1D825148
	v_mfma_i32_16x16x32_i8 v[96:99], a[74:75], a[42:43], v[96:99]// 0000000071BC: D3D70060 1D82554A
	s_add_u32 s60, 0x80, s80                                   // 0000000071C4: 803C50FF 00000080
	s_cmp_lt_u32 s60, s81                                      // 0000000071CC: BF0A513C
	s_cselect_b32 s83, s83, 0                                  // 0000000071D0: 85538053
	v_mfma_i32_16x16x32_i8 v[96:99], a[76:77], a[44:45], v[96:99]// 0000000071D4: D3D70060 1D82594C
	v_mfma_i32_16x16x32_i8 v[96:99], a[78:79], a[46:47], v[96:99]// 0000000071DC: D3D70060 1D825D4E
	s_waitcnt vmcnt(6)                                         // 0000000071E4: BF8C0F76
	v_mfma_i32_16x16x32_i8 v[100:103], a[80:81], a[24:25], v[100:103]// 0000000071E8: D3D70064 1D923150
	buffer_load_dwordx4 a[48:51], v46, s[24:27], 0 offen       // 0000000071F0: E05C1000 8086302E
	v_mfma_i32_16x16x32_i8 v[100:103], a[82:83], a[26:27], v[100:103]// 0000000071F8: D3D70064 1D923552
	v_mfma_i32_16x16x32_i8 v[100:103], a[84:85], a[28:29], v[100:103]// 000000007200: D3D70064 1D923954
	ds_read_b128 a[0:3], v2                                    // 000000007208: DBFE0000 00000002
	ds_read_b128 a[4:7], v2 offset:64                          // 000000007210: DBFE0040 04000002
	v_mfma_i32_16x16x32_i8 v[100:103], a[86:87], a[30:31], v[100:103]// 000000007218: D3D70064 1D923D56
	v_mfma_i32_16x16x32_i8 v[112:115], a[88:89], a[24:25], v[112:115]// 000000007220: D3D70070 1DC23158
	buffer_load_dwordx4 a[52:55], v46, s[24:27], 0 offen offset:1024// 000000007228: E05C1400 8086342E
	v_mfma_i32_16x16x32_i8 v[112:115], a[90:91], a[26:27], v[112:115]// 000000007230: D3D70070 1DC2355A
	v_mfma_i32_16x16x32_i8 v[112:115], a[92:93], a[28:29], v[112:115]// 000000007238: D3D70070 1DC2395C
	ds_read_b128 a[8:11], v2 offset:512                        // 000000007240: DBFE0200 08000002
	ds_read_b128 a[12:15], v2 offset:576                       // 000000007248: DBFE0240 0C000002
	v_mfma_i32_16x16x32_i8 v[112:115], a[94:95], a[30:31], v[112:115]// 000000007250: D3D70070 1DC23D5E
	v_mfma_i32_16x16x32_i8 v[124:127], a[96:97], a[24:25], v[124:127]// 000000007258: D3D7007C 1DF23160
	buffer_load_dwordx4 a[56:59], v47, s[24:27], 0 offen       // 000000007260: E05C1000 8086382F
	v_mfma_i32_16x16x32_i8 v[124:127], a[98:99], a[26:27], v[124:127]// 000000007268: D3D7007C 1DF23562
	v_mfma_i32_16x16x32_i8 v[124:127], a[100:101], a[28:29], v[124:127]// 000000007270: D3D7007C 1DF23964
	ds_read_b128 a[16:19], v2 offset:1024                      // 000000007278: DBFE0400 10000002
	ds_read_b128 a[20:23], v2 offset:1088                      // 000000007280: DBFE0440 14000002
	v_mfma_i32_16x16x32_i8 v[124:127], a[102:103], a[30:31], v[124:127]// 000000007288: D3D7007C 1DF23D66
	v_mfma_i32_16x16x32_i8 v[136:139], a[104:105], a[24:25], v[136:139]// 000000007290: D3D70088 1E223168
	buffer_load_dwordx4 a[60:63], v47, s[24:27], 0 offen offset:1024// 000000007298: E05C1400 80863C2F
	v_mfma_i32_16x16x32_i8 v[136:139], a[106:107], a[26:27], v[136:139]// 0000000072A0: D3D70088 1E22356A
	v_mfma_i32_16x16x32_i8 v[136:139], a[108:109], a[28:29], v[136:139]// 0000000072A8: D3D70088 1E22396C
	v_mfma_i32_16x16x32_i8 v[136:139], a[110:111], a[30:31], v[136:139]// 0000000072B0: D3D70088 1E223D6E
	v_mfma_i32_16x16x32_i8 v[104:107], a[80:81], a[32:33], v[104:107]// 0000000072B8: D3D70068 1DA24150
	buffer_load_dwordx4 a[64:67], v48, s[24:27], 0 offen       // 0000000072C0: E05C1000 80864030
	v_mfma_i32_16x16x32_i8 v[104:107], a[82:83], a[34:35], v[104:107]// 0000000072C8: D3D70068 1DA24552
	v_mfma_i32_16x16x32_i8 v[104:107], a[84:85], a[36:37], v[104:107]// 0000000072D0: D3D70068 1DA24954
	v_mfma_i32_16x16x32_i8 v[104:107], a[86:87], a[38:39], v[104:107]// 0000000072D8: D3D70068 1DA24D56
	v_mfma_i32_16x16x32_i8 v[116:119], a[88:89], a[32:33], v[116:119]// 0000000072E0: D3D70074 1DD24158
	buffer_load_dwordx4 a[68:71], v48, s[24:27], 0 offen offset:1024// 0000000072E8: E05C1400 80864430
	v_mfma_i32_16x16x32_i8 v[116:119], a[90:91], a[34:35], v[116:119]// 0000000072F0: D3D70074 1DD2455A
	v_mfma_i32_16x16x32_i8 v[116:119], a[92:93], a[36:37], v[116:119]// 0000000072F8: D3D70074 1DD2495C
	v_mfma_i32_16x16x32_i8 v[116:119], a[94:95], a[38:39], v[116:119]// 000000007300: D3D70074 1DD24D5E
	v_mfma_i32_16x16x32_i8 v[128:131], a[96:97], a[32:33], v[128:131]// 000000007308: D3D70080 1E024160
	buffer_load_dwordx4 a[72:75], v49, s[24:27], 0 offen       // 000000007310: E05C1000 80864831
	v_mfma_i32_16x16x32_i8 v[128:131], a[98:99], a[34:35], v[128:131]// 000000007318: D3D70080 1E024562
	v_mfma_i32_16x16x32_i8 v[128:131], a[100:101], a[36:37], v[128:131]// 000000007320: D3D70080 1E024964
	v_mfma_i32_16x16x32_i8 v[128:131], a[102:103], a[38:39], v[128:131]// 000000007328: D3D70080 1E024D66
	v_mfma_i32_16x16x32_i8 v[140:143], a[104:105], a[32:33], v[140:143]// 000000007330: D3D7008C 1E324168
	buffer_load_dwordx4 a[76:79], v49, s[24:27], 0 offen offset:1024// 000000007338: E05C1400 80864C31
	v_mfma_i32_16x16x32_i8 v[140:143], a[106:107], a[34:35], v[140:143]// 000000007340: D3D7008C 1E32456A
	v_mfma_i32_16x16x32_i8 v[140:143], a[108:109], a[36:37], v[140:143]// 000000007348: D3D7008C 1E32496C
	v_mfma_i32_16x16x32_i8 v[140:143], a[110:111], a[38:39], v[140:143]// 000000007350: D3D7008C 1E324D6E
	v_mfma_i32_16x16x32_i8 v[108:111], a[80:81], a[40:41], v[108:111]// 000000007358: D3D7006C 1DB25150
	v_mfma_i32_16x16x32_i8 v[108:111], a[82:83], a[42:43], v[108:111]// 000000007360: D3D7006C 1DB25552
	v_mfma_i32_16x16x32_i8 v[108:111], a[84:85], a[44:45], v[108:111]// 000000007368: D3D7006C 1DB25954
	v_mfma_i32_16x16x32_i8 v[108:111], a[86:87], a[46:47], v[108:111]// 000000007370: D3D7006C 1DB25D56
	v_mfma_i32_16x16x32_i8 v[120:123], a[88:89], a[40:41], v[120:123]// 000000007378: D3D70078 1DE25158
	v_mfma_i32_16x16x32_i8 v[120:123], a[90:91], a[42:43], v[120:123]// 000000007380: D3D70078 1DE2555A
	v_mfma_i32_16x16x32_i8 v[120:123], a[92:93], a[44:45], v[120:123]// 000000007388: D3D70078 1DE2595C
	v_mfma_i32_16x16x32_i8 v[120:123], a[94:95], a[46:47], v[120:123]// 000000007390: D3D70078 1DE25D5E
	v_mfma_i32_16x16x32_i8 v[132:135], a[96:97], a[40:41], v[132:135]// 000000007398: D3D70084 1E125160
	v_mfma_i32_16x16x32_i8 v[132:135], a[98:99], a[42:43], v[132:135]// 0000000073A0: D3D70084 1E125562
	v_mfma_i32_16x16x32_i8 v[132:135], a[100:101], a[44:45], v[132:135]// 0000000073A8: D3D70084 1E125964
	s_add_u32 s60, 0x180, s80                                  // 0000000073B0: 803C50FF 00000180
	s_cmp_lt_u32 s60, s81                                      // 0000000073B8: BF0A513C
	s_cselect_b32 s57, s57, 0                                  // 0000000073BC: 85398039
	v_mfma_i32_16x16x32_i8 v[132:135], a[102:103], a[46:47], v[132:135]// 0000000073C0: D3D70084 1E125D66
	s_add_u32 s60, 0x100, s80                                  // 0000000073C8: 803C50FF 00000100
	s_cmp_lt_u32 s60, s81                                      // 0000000073D0: BF0A513C
	s_cselect_b32 s58, s58, 0                                  // 0000000073D4: 853A803A
	v_mfma_i32_16x16x32_i8 v[144:147], a[104:105], a[40:41], v[144:147]// 0000000073D8: D3D70090 1E425168
	s_add_u32 s24, s58, s24                                    // 0000000073E0: 8018183A
	s_addc_u32 s25, 0, s25                                     // 0000000073E4: 82191980
	v_mfma_i32_16x16x32_i8 v[144:147], a[106:107], a[42:43], v[144:147]// 0000000073E8: D3D70090 1E42556A
	s_add_u32 s20, s57, s20                                    // 0000000073F0: 80141439
	s_addc_u32 s21, 0, s21                                     // 0000000073F4: 82151580
	v_mfma_i32_16x16x32_i8 v[144:147], a[108:109], a[44:45], v[144:147]// 0000000073F8: D3D70090 1E42596C
	s_add_u32 s84, s83, s84                                    // 000000007400: 80545453
	s_addc_u32 s85, 0, s85                                     // 000000007404: 82555580
	v_mfma_i32_16x16x32_i8 v[144:147], a[110:111], a[46:47], v[144:147]// 000000007408: D3D70090 1E425D6E
	s_addk_i32 s80, 0x80                                       // 000000007410: B7500080
	s_cmp_lt_i32 s80, s81                                      // 000000007414: BF045150
	s_cbranch_scc0 label_128B                                  // 000000007418: BF840001
	s_branch label_104E                                        // 00000000741C: BF82FDC3

0000000000007420 <label_128B>:
	v_cvt_f32_i32_e32 v52, v52                                 // 000000007420: 7E680B34
	v_cvt_f32_i32_e32 v53, v53                                 // 000000007424: 7E6A0B35
	v_cvt_f32_i32_e32 v54, v54                                 // 000000007428: 7E6C0B36
	v_cvt_f32_i32_e32 v55, v55                                 // 00000000742C: 7E6E0B37
	v_mul_f32_dpp v52, v24, v52 row_newbcast:0 row_mask:0xf bank_mask:0xf// 000000007430: 0A6868FA FF015018
	v_mul_f32_dpp v53, v24, v53 row_newbcast:1 row_mask:0xf bank_mask:0xf// 000000007438: 0A6A6AFA FF015118
	v_mul_f32_dpp v54, v24, v54 row_newbcast:2 row_mask:0xf bank_mask:0xf// 000000007440: 0A6C6CFA FF015218
	v_mul_f32_dpp v55, v24, v55 row_newbcast:3 row_mask:0xf bank_mask:0xf// 000000007448: 0A6E6EFA FF015318
	v_cvt_f32_i32_e32 v56, v56                                 // 000000007450: 7E700B38
	v_cvt_f32_i32_e32 v57, v57                                 // 000000007454: 7E720B39
	v_cvt_f32_i32_e32 v58, v58                                 // 000000007458: 7E740B3A
	v_cvt_f32_i32_e32 v59, v59                                 // 00000000745C: 7E760B3B
	v_mul_f32_dpp v56, v24, v56 row_newbcast:0 row_mask:0xf bank_mask:0xf// 000000007460: 0A7070FA FF015018
	v_mul_f32_dpp v57, v24, v57 row_newbcast:1 row_mask:0xf bank_mask:0xf// 000000007468: 0A7272FA FF015118
	v_mul_f32_dpp v58, v24, v58 row_newbcast:2 row_mask:0xf bank_mask:0xf// 000000007470: 0A7474FA FF015218
	v_mul_f32_dpp v59, v24, v59 row_newbcast:3 row_mask:0xf bank_mask:0xf// 000000007478: 0A7676FA FF015318
	v_cvt_f32_i32_e32 v60, v60                                 // 000000007480: 7E780B3C
	v_cvt_f32_i32_e32 v61, v61                                 // 000000007484: 7E7A0B3D
	v_cvt_f32_i32_e32 v62, v62                                 // 000000007488: 7E7C0B3E
	v_cvt_f32_i32_e32 v63, v63                                 // 00000000748C: 7E7E0B3F
	v_mul_f32_dpp v60, v24, v60 row_newbcast:0 row_mask:0xf bank_mask:0xf// 000000007490: 0A7878FA FF015018
	v_mul_f32_dpp v61, v24, v61 row_newbcast:1 row_mask:0xf bank_mask:0xf// 000000007498: 0A7A7AFA FF015118
	v_mul_f32_dpp v62, v24, v62 row_newbcast:2 row_mask:0xf bank_mask:0xf// 0000000074A0: 0A7C7CFA FF015218
	v_mul_f32_dpp v63, v24, v63 row_newbcast:3 row_mask:0xf bank_mask:0xf// 0000000074A8: 0A7E7EFA FF015318
	v_cvt_f32_i32_e32 v64, v64                                 // 0000000074B0: 7E800B40
	v_cvt_f32_i32_e32 v65, v65                                 // 0000000074B4: 7E820B41
	v_cvt_f32_i32_e32 v66, v66                                 // 0000000074B8: 7E840B42
	v_cvt_f32_i32_e32 v67, v67                                 // 0000000074BC: 7E860B43
	v_mul_f32_dpp v64, v24, v64 row_newbcast:4 row_mask:0xf bank_mask:0xf// 0000000074C0: 0A8080FA FF015418
	v_mul_f32_dpp v65, v24, v65 row_newbcast:5 row_mask:0xf bank_mask:0xf// 0000000074C8: 0A8282FA FF015518
	v_mul_f32_dpp v66, v24, v66 row_newbcast:6 row_mask:0xf bank_mask:0xf// 0000000074D0: 0A8484FA FF015618
	v_mul_f32_dpp v67, v24, v67 row_newbcast:7 row_mask:0xf bank_mask:0xf// 0000000074D8: 0A8686FA FF015718
	v_cvt_f32_i32_e32 v68, v68                                 // 0000000074E0: 7E880B44
	v_cvt_f32_i32_e32 v69, v69                                 // 0000000074E4: 7E8A0B45
	v_cvt_f32_i32_e32 v70, v70                                 // 0000000074E8: 7E8C0B46
	v_cvt_f32_i32_e32 v71, v71                                 // 0000000074EC: 7E8E0B47
	v_mul_f32_dpp v68, v24, v68 row_newbcast:4 row_mask:0xf bank_mask:0xf// 0000000074F0: 0A8888FA FF015418
	v_mul_f32_dpp v69, v24, v69 row_newbcast:5 row_mask:0xf bank_mask:0xf// 0000000074F8: 0A8A8AFA FF015518
	v_mul_f32_dpp v70, v24, v70 row_newbcast:6 row_mask:0xf bank_mask:0xf// 000000007500: 0A8C8CFA FF015618
	v_mul_f32_dpp v71, v24, v71 row_newbcast:7 row_mask:0xf bank_mask:0xf// 000000007508: 0A8E8EFA FF015718
	v_cvt_f32_i32_e32 v72, v72                                 // 000000007510: 7E900B48
	v_cvt_f32_i32_e32 v73, v73                                 // 000000007514: 7E920B49
	v_cvt_f32_i32_e32 v74, v74                                 // 000000007518: 7E940B4A
	v_cvt_f32_i32_e32 v75, v75                                 // 00000000751C: 7E960B4B
	v_mul_f32_dpp v72, v24, v72 row_newbcast:4 row_mask:0xf bank_mask:0xf// 000000007520: 0A9090FA FF015418
	v_mul_f32_dpp v73, v24, v73 row_newbcast:5 row_mask:0xf bank_mask:0xf// 000000007528: 0A9292FA FF015518
	v_mul_f32_dpp v74, v24, v74 row_newbcast:6 row_mask:0xf bank_mask:0xf// 000000007530: 0A9494FA FF015618
	v_mul_f32_dpp v75, v24, v75 row_newbcast:7 row_mask:0xf bank_mask:0xf// 000000007538: 0A9696FA FF015718
	v_cvt_f32_i32_e32 v76, v76                                 // 000000007540: 7E980B4C
	v_cvt_f32_i32_e32 v77, v77                                 // 000000007544: 7E9A0B4D
	v_cvt_f32_i32_e32 v78, v78                                 // 000000007548: 7E9C0B4E
	v_cvt_f32_i32_e32 v79, v79                                 // 00000000754C: 7E9E0B4F
	v_mul_f32_dpp v76, v24, v76 row_newbcast:8 row_mask:0xf bank_mask:0xf// 000000007550: 0A9898FA FF015818
	v_mul_f32_dpp v77, v24, v77 row_newbcast:9 row_mask:0xf bank_mask:0xf// 000000007558: 0A9A9AFA FF015918
	v_mul_f32_dpp v78, v24, v78 row_newbcast:10 row_mask:0xf bank_mask:0xf// 000000007560: 0A9C9CFA FF015A18
	v_mul_f32_dpp v79, v24, v79 row_newbcast:11 row_mask:0xf bank_mask:0xf// 000000007568: 0A9E9EFA FF015B18
	v_cvt_f32_i32_e32 v80, v80                                 // 000000007570: 7EA00B50
	v_cvt_f32_i32_e32 v81, v81                                 // 000000007574: 7EA20B51
	v_cvt_f32_i32_e32 v82, v82                                 // 000000007578: 7EA40B52
	v_cvt_f32_i32_e32 v83, v83                                 // 00000000757C: 7EA60B53
	v_mul_f32_dpp v80, v24, v80 row_newbcast:8 row_mask:0xf bank_mask:0xf// 000000007580: 0AA0A0FA FF015818
	v_mul_f32_dpp v81, v24, v81 row_newbcast:9 row_mask:0xf bank_mask:0xf// 000000007588: 0AA2A2FA FF015918
	v_mul_f32_dpp v82, v24, v82 row_newbcast:10 row_mask:0xf bank_mask:0xf// 000000007590: 0AA4A4FA FF015A18
	v_mul_f32_dpp v83, v24, v83 row_newbcast:11 row_mask:0xf bank_mask:0xf// 000000007598: 0AA6A6FA FF015B18
	v_cvt_f32_i32_e32 v84, v84                                 // 0000000075A0: 7EA80B54
	v_cvt_f32_i32_e32 v85, v85                                 // 0000000075A4: 7EAA0B55
	v_cvt_f32_i32_e32 v86, v86                                 // 0000000075A8: 7EAC0B56
	v_cvt_f32_i32_e32 v87, v87                                 // 0000000075AC: 7EAE0B57
	v_mul_f32_dpp v84, v24, v84 row_newbcast:8 row_mask:0xf bank_mask:0xf// 0000000075B0: 0AA8A8FA FF015818
	v_mul_f32_dpp v85, v24, v85 row_newbcast:9 row_mask:0xf bank_mask:0xf// 0000000075B8: 0AAAAAFA FF015918
	v_mul_f32_dpp v86, v24, v86 row_newbcast:10 row_mask:0xf bank_mask:0xf// 0000000075C0: 0AACACFA FF015A18
	v_mul_f32_dpp v87, v24, v87 row_newbcast:11 row_mask:0xf bank_mask:0xf// 0000000075C8: 0AAEAEFA FF015B18
	v_cvt_f32_i32_e32 v88, v88                                 // 0000000075D0: 7EB00B58
	v_cvt_f32_i32_e32 v89, v89                                 // 0000000075D4: 7EB20B59
	v_cvt_f32_i32_e32 v90, v90                                 // 0000000075D8: 7EB40B5A
	v_cvt_f32_i32_e32 v91, v91                                 // 0000000075DC: 7EB60B5B
	v_mul_f32_dpp v88, v24, v88 row_newbcast:12 row_mask:0xf bank_mask:0xf// 0000000075E0: 0AB0B0FA FF015C18
	v_mul_f32_dpp v89, v24, v89 row_newbcast:13 row_mask:0xf bank_mask:0xf// 0000000075E8: 0AB2B2FA FF015D18
	v_mul_f32_dpp v90, v24, v90 row_newbcast:14 row_mask:0xf bank_mask:0xf// 0000000075F0: 0AB4B4FA FF015E18
	v_mul_f32_dpp v91, v24, v91 row_newbcast:15 row_mask:0xf bank_mask:0xf// 0000000075F8: 0AB6B6FA FF015F18
	v_cvt_f32_i32_e32 v92, v92                                 // 000000007600: 7EB80B5C
	v_cvt_f32_i32_e32 v93, v93                                 // 000000007604: 7EBA0B5D
	v_cvt_f32_i32_e32 v94, v94                                 // 000000007608: 7EBC0B5E
	v_cvt_f32_i32_e32 v95, v95                                 // 00000000760C: 7EBE0B5F
	v_mul_f32_dpp v92, v24, v92 row_newbcast:12 row_mask:0xf bank_mask:0xf// 000000007610: 0AB8B8FA FF015C18
	v_mul_f32_dpp v93, v24, v93 row_newbcast:13 row_mask:0xf bank_mask:0xf// 000000007618: 0ABABAFA FF015D18
	v_mul_f32_dpp v94, v24, v94 row_newbcast:14 row_mask:0xf bank_mask:0xf// 000000007620: 0ABCBCFA FF015E18
	v_mul_f32_dpp v95, v24, v95 row_newbcast:15 row_mask:0xf bank_mask:0xf// 000000007628: 0ABEBEFA FF015F18
	v_cvt_f32_i32_e32 v96, v96                                 // 000000007630: 7EC00B60
	v_cvt_f32_i32_e32 v97, v97                                 // 000000007634: 7EC20B61
	v_cvt_f32_i32_e32 v98, v98                                 // 000000007638: 7EC40B62
	v_cvt_f32_i32_e32 v99, v99                                 // 00000000763C: 7EC60B63
	v_mul_f32_dpp v96, v24, v96 row_newbcast:12 row_mask:0xf bank_mask:0xf// 000000007640: 0AC0C0FA FF015C18
	v_mul_f32_dpp v97, v24, v97 row_newbcast:13 row_mask:0xf bank_mask:0xf// 000000007648: 0AC2C2FA FF015D18
	v_mul_f32_dpp v98, v24, v98 row_newbcast:14 row_mask:0xf bank_mask:0xf// 000000007650: 0AC4C4FA FF015E18
	v_mul_f32_dpp v99, v24, v99 row_newbcast:15 row_mask:0xf bank_mask:0xf// 000000007658: 0AC6C6FA FF015F18
	v_cvt_f32_i32_e32 v100, v100                               // 000000007660: 7EC80B64
	v_cvt_f32_i32_e32 v101, v101                               // 000000007664: 7ECA0B65
	v_cvt_f32_i32_e32 v102, v102                               // 000000007668: 7ECC0B66
	v_cvt_f32_i32_e32 v103, v103                               // 00000000766C: 7ECE0B67
	v_mul_f32_dpp v100, v26, v100 row_newbcast:0 row_mask:0xf bank_mask:0xf// 000000007670: 0AC8C8FA FF01501A
	v_mul_f32_dpp v101, v26, v101 row_newbcast:1 row_mask:0xf bank_mask:0xf// 000000007678: 0ACACAFA FF01511A
	v_mul_f32_dpp v102, v26, v102 row_newbcast:2 row_mask:0xf bank_mask:0xf// 000000007680: 0ACCCCFA FF01521A
	v_mul_f32_dpp v103, v26, v103 row_newbcast:3 row_mask:0xf bank_mask:0xf// 000000007688: 0ACECEFA FF01531A
	v_cvt_f32_i32_e32 v104, v104                               // 000000007690: 7ED00B68
	v_cvt_f32_i32_e32 v105, v105                               // 000000007694: 7ED20B69
	v_cvt_f32_i32_e32 v106, v106                               // 000000007698: 7ED40B6A
	v_cvt_f32_i32_e32 v107, v107                               // 00000000769C: 7ED60B6B
	v_mul_f32_dpp v104, v26, v104 row_newbcast:0 row_mask:0xf bank_mask:0xf// 0000000076A0: 0AD0D0FA FF01501A
	v_mul_f32_dpp v105, v26, v105 row_newbcast:1 row_mask:0xf bank_mask:0xf// 0000000076A8: 0AD2D2FA FF01511A
	v_mul_f32_dpp v106, v26, v106 row_newbcast:2 row_mask:0xf bank_mask:0xf// 0000000076B0: 0AD4D4FA FF01521A
	v_mul_f32_dpp v107, v26, v107 row_newbcast:3 row_mask:0xf bank_mask:0xf// 0000000076B8: 0AD6D6FA FF01531A
	v_cvt_f32_i32_e32 v108, v108                               // 0000000076C0: 7ED80B6C
	v_cvt_f32_i32_e32 v109, v109                               // 0000000076C4: 7EDA0B6D
	v_cvt_f32_i32_e32 v110, v110                               // 0000000076C8: 7EDC0B6E
	v_cvt_f32_i32_e32 v111, v111                               // 0000000076CC: 7EDE0B6F
	v_mul_f32_dpp v108, v26, v108 row_newbcast:0 row_mask:0xf bank_mask:0xf// 0000000076D0: 0AD8D8FA FF01501A
	v_mul_f32_dpp v109, v26, v109 row_newbcast:1 row_mask:0xf bank_mask:0xf// 0000000076D8: 0ADADAFA FF01511A
	v_mul_f32_dpp v110, v26, v110 row_newbcast:2 row_mask:0xf bank_mask:0xf// 0000000076E0: 0ADCDCFA FF01521A
	v_mul_f32_dpp v111, v26, v111 row_newbcast:3 row_mask:0xf bank_mask:0xf// 0000000076E8: 0ADEDEFA FF01531A
	v_cvt_f32_i32_e32 v112, v112                               // 0000000076F0: 7EE00B70
	v_cvt_f32_i32_e32 v113, v113                               // 0000000076F4: 7EE20B71
	v_cvt_f32_i32_e32 v114, v114                               // 0000000076F8: 7EE40B72
	v_cvt_f32_i32_e32 v115, v115                               // 0000000076FC: 7EE60B73
	v_mul_f32_dpp v112, v26, v112 row_newbcast:4 row_mask:0xf bank_mask:0xf// 000000007700: 0AE0E0FA FF01541A
	v_mul_f32_dpp v113, v26, v113 row_newbcast:5 row_mask:0xf bank_mask:0xf// 000000007708: 0AE2E2FA FF01551A
	v_mul_f32_dpp v114, v26, v114 row_newbcast:6 row_mask:0xf bank_mask:0xf// 000000007710: 0AE4E4FA FF01561A
	v_mul_f32_dpp v115, v26, v115 row_newbcast:7 row_mask:0xf bank_mask:0xf// 000000007718: 0AE6E6FA FF01571A
	v_cvt_f32_i32_e32 v116, v116                               // 000000007720: 7EE80B74
	v_cvt_f32_i32_e32 v117, v117                               // 000000007724: 7EEA0B75
	v_cvt_f32_i32_e32 v118, v118                               // 000000007728: 7EEC0B76
	v_cvt_f32_i32_e32 v119, v119                               // 00000000772C: 7EEE0B77
	v_mul_f32_dpp v116, v26, v116 row_newbcast:4 row_mask:0xf bank_mask:0xf// 000000007730: 0AE8E8FA FF01541A
	v_mul_f32_dpp v117, v26, v117 row_newbcast:5 row_mask:0xf bank_mask:0xf// 000000007738: 0AEAEAFA FF01551A
	v_mul_f32_dpp v118, v26, v118 row_newbcast:6 row_mask:0xf bank_mask:0xf// 000000007740: 0AECECFA FF01561A
	v_mul_f32_dpp v119, v26, v119 row_newbcast:7 row_mask:0xf bank_mask:0xf// 000000007748: 0AEEEEFA FF01571A
	v_cvt_f32_i32_e32 v120, v120                               // 000000007750: 7EF00B78
	v_cvt_f32_i32_e32 v121, v121                               // 000000007754: 7EF20B79
	v_cvt_f32_i32_e32 v122, v122                               // 000000007758: 7EF40B7A
	v_cvt_f32_i32_e32 v123, v123                               // 00000000775C: 7EF60B7B
	v_mul_f32_dpp v120, v26, v120 row_newbcast:4 row_mask:0xf bank_mask:0xf// 000000007760: 0AF0F0FA FF01541A
	v_mul_f32_dpp v121, v26, v121 row_newbcast:5 row_mask:0xf bank_mask:0xf// 000000007768: 0AF2F2FA FF01551A
	v_mul_f32_dpp v122, v26, v122 row_newbcast:6 row_mask:0xf bank_mask:0xf// 000000007770: 0AF4F4FA FF01561A
	v_mul_f32_dpp v123, v26, v123 row_newbcast:7 row_mask:0xf bank_mask:0xf// 000000007778: 0AF6F6FA FF01571A
	v_cvt_f32_i32_e32 v124, v124                               // 000000007780: 7EF80B7C
	v_cvt_f32_i32_e32 v125, v125                               // 000000007784: 7EFA0B7D
	v_cvt_f32_i32_e32 v126, v126                               // 000000007788: 7EFC0B7E
	v_cvt_f32_i32_e32 v127, v127                               // 00000000778C: 7EFE0B7F
	v_mul_f32_dpp v124, v26, v124 row_newbcast:8 row_mask:0xf bank_mask:0xf// 000000007790: 0AF8F8FA FF01581A
	v_mul_f32_dpp v125, v26, v125 row_newbcast:9 row_mask:0xf bank_mask:0xf// 000000007798: 0AFAFAFA FF01591A
	v_mul_f32_dpp v126, v26, v126 row_newbcast:10 row_mask:0xf bank_mask:0xf// 0000000077A0: 0AFCFCFA FF015A1A
	v_mul_f32_dpp v127, v26, v127 row_newbcast:11 row_mask:0xf bank_mask:0xf// 0000000077A8: 0AFEFEFA FF015B1A
	v_cvt_f32_i32_e32 v128, v128                               // 0000000077B0: 7F000B80
	v_cvt_f32_i32_e32 v129, v129                               // 0000000077B4: 7F020B81
	v_cvt_f32_i32_e32 v130, v130                               // 0000000077B8: 7F040B82
	v_cvt_f32_i32_e32 v131, v131                               // 0000000077BC: 7F060B83
	v_mul_f32_dpp v128, v26, v128 row_newbcast:8 row_mask:0xf bank_mask:0xf// 0000000077C0: 0B0100FA FF01581A
	v_mul_f32_dpp v129, v26, v129 row_newbcast:9 row_mask:0xf bank_mask:0xf// 0000000077C8: 0B0302FA FF01591A
	v_mul_f32_dpp v130, v26, v130 row_newbcast:10 row_mask:0xf bank_mask:0xf// 0000000077D0: 0B0504FA FF015A1A
	v_mul_f32_dpp v131, v26, v131 row_newbcast:11 row_mask:0xf bank_mask:0xf// 0000000077D8: 0B0706FA FF015B1A
	v_cvt_f32_i32_e32 v132, v132                               // 0000000077E0: 7F080B84
	v_cvt_f32_i32_e32 v133, v133                               // 0000000077E4: 7F0A0B85
	v_cvt_f32_i32_e32 v134, v134                               // 0000000077E8: 7F0C0B86
	v_cvt_f32_i32_e32 v135, v135                               // 0000000077EC: 7F0E0B87
	v_mul_f32_dpp v132, v26, v132 row_newbcast:8 row_mask:0xf bank_mask:0xf// 0000000077F0: 0B0908FA FF01581A
	v_mul_f32_dpp v133, v26, v133 row_newbcast:9 row_mask:0xf bank_mask:0xf// 0000000077F8: 0B0B0AFA FF01591A
	v_mul_f32_dpp v134, v26, v134 row_newbcast:10 row_mask:0xf bank_mask:0xf// 000000007800: 0B0D0CFA FF015A1A
	v_mul_f32_dpp v135, v26, v135 row_newbcast:11 row_mask:0xf bank_mask:0xf// 000000007808: 0B0F0EFA FF015B1A
	v_cvt_f32_i32_e32 v136, v136                               // 000000007810: 7F100B88
	v_cvt_f32_i32_e32 v137, v137                               // 000000007814: 7F120B89
	v_cvt_f32_i32_e32 v138, v138                               // 000000007818: 7F140B8A
	v_cvt_f32_i32_e32 v139, v139                               // 00000000781C: 7F160B8B
	v_mul_f32_dpp v136, v26, v136 row_newbcast:12 row_mask:0xf bank_mask:0xf// 000000007820: 0B1110FA FF015C1A
	v_mul_f32_dpp v137, v26, v137 row_newbcast:13 row_mask:0xf bank_mask:0xf// 000000007828: 0B1312FA FF015D1A
	v_mul_f32_dpp v138, v26, v138 row_newbcast:14 row_mask:0xf bank_mask:0xf// 000000007830: 0B1514FA FF015E1A
	v_mul_f32_dpp v139, v26, v139 row_newbcast:15 row_mask:0xf bank_mask:0xf// 000000007838: 0B1716FA FF015F1A
	v_cvt_f32_i32_e32 v140, v140                               // 000000007840: 7F180B8C
	v_cvt_f32_i32_e32 v141, v141                               // 000000007844: 7F1A0B8D
	v_cvt_f32_i32_e32 v142, v142                               // 000000007848: 7F1C0B8E
	v_cvt_f32_i32_e32 v143, v143                               // 00000000784C: 7F1E0B8F
	v_mul_f32_dpp v140, v26, v140 row_newbcast:12 row_mask:0xf bank_mask:0xf// 000000007850: 0B1918FA FF015C1A
	v_mul_f32_dpp v141, v26, v141 row_newbcast:13 row_mask:0xf bank_mask:0xf// 000000007858: 0B1B1AFA FF015D1A
	v_mul_f32_dpp v142, v26, v142 row_newbcast:14 row_mask:0xf bank_mask:0xf// 000000007860: 0B1D1CFA FF015E1A
	v_mul_f32_dpp v143, v26, v143 row_newbcast:15 row_mask:0xf bank_mask:0xf// 000000007868: 0B1F1EFA FF015F1A
	v_cvt_f32_i32_e32 v144, v144                               // 000000007870: 7F200B90
	v_cvt_f32_i32_e32 v145, v145                               // 000000007874: 7F220B91
	v_cvt_f32_i32_e32 v146, v146                               // 000000007878: 7F240B92
	v_cvt_f32_i32_e32 v147, v147                               // 00000000787C: 7F260B93
	v_mul_f32_dpp v144, v26, v144 row_newbcast:12 row_mask:0xf bank_mask:0xf// 000000007880: 0B2120FA FF015C1A
	v_mul_f32_dpp v145, v26, v145 row_newbcast:13 row_mask:0xf bank_mask:0xf// 000000007888: 0B2322FA FF015D1A
	v_mul_f32_dpp v146, v26, v146 row_newbcast:14 row_mask:0xf bank_mask:0xf// 000000007890: 0B2524FA FF015E1A
	v_mul_f32_dpp v147, v26, v147 row_newbcast:15 row_mask:0xf bank_mask:0xf// 000000007898: 0B2726FA FF015F1A
	v_mov_b32_e32 v4, v31                                      // 0000000078A0: 7E08031F
	v_mov_b32_e32 v5, v4                                       // 0000000078A4: 7E0A0304
	v_pk_mul_f32 v[52:53], v[4:5], v[52:53]                    // 0000000078A8: D3B14034 18026904
	v_pk_mul_f32 v[100:101], v[4:5], v[100:101]                // 0000000078B0: D3B14064 1802C904
	v_pk_mul_f32 v[54:55], v[4:5], v[54:55]                    // 0000000078B8: D3B14036 18026D04
	v_pk_mul_f32 v[102:103], v[4:5], v[102:103]                // 0000000078C0: D3B14066 1802CD04
	v_pk_mul_f32 v[64:65], v[4:5], v[64:65]                    // 0000000078C8: D3B14040 18028104
	v_pk_mul_f32 v[112:113], v[4:5], v[112:113]                // 0000000078D0: D3B14070 1802E104
	v_pk_mul_f32 v[66:67], v[4:5], v[66:67]                    // 0000000078D8: D3B14042 18028504
	v_pk_mul_f32 v[114:115], v[4:5], v[114:115]                // 0000000078E0: D3B14072 1802E504
	v_pk_mul_f32 v[76:77], v[4:5], v[76:77]                    // 0000000078E8: D3B1404C 18029904
	v_pk_mul_f32 v[124:125], v[4:5], v[124:125]                // 0000000078F0: D3B1407C 1802F904
	v_pk_mul_f32 v[78:79], v[4:5], v[78:79]                    // 0000000078F8: D3B1404E 18029D04
	v_pk_mul_f32 v[126:127], v[4:5], v[126:127]                // 000000007900: D3B1407E 1802FD04
	v_pk_mul_f32 v[88:89], v[4:5], v[88:89]                    // 000000007908: D3B14058 1802B104
	v_pk_mul_f32 v[136:137], v[4:5], v[136:137]                // 000000007910: D3B14088 18031104
	v_pk_mul_f32 v[90:91], v[4:5], v[90:91]                    // 000000007918: D3B1405A 1802B504
	v_pk_mul_f32 v[138:139], v[4:5], v[138:139]                // 000000007920: D3B1408A 18031504
	v_mov_b32_e32 v4, v32                                      // 000000007928: 7E080320
	v_mov_b32_e32 v5, v4                                       // 00000000792C: 7E0A0304
	v_pk_mul_f32 v[56:57], v[4:5], v[56:57]                    // 000000007930: D3B14038 18027104
	v_pk_mul_f32 v[104:105], v[4:5], v[104:105]                // 000000007938: D3B14068 1802D104
	v_pk_mul_f32 v[58:59], v[4:5], v[58:59]                    // 000000007940: D3B1403A 18027504
	v_pk_mul_f32 v[106:107], v[4:5], v[106:107]                // 000000007948: D3B1406A 1802D504
	v_pk_mul_f32 v[68:69], v[4:5], v[68:69]                    // 000000007950: D3B14044 18028904
	v_pk_mul_f32 v[116:117], v[4:5], v[116:117]                // 000000007958: D3B14074 1802E904
	v_pk_mul_f32 v[70:71], v[4:5], v[70:71]                    // 000000007960: D3B14046 18028D04
	v_pk_mul_f32 v[118:119], v[4:5], v[118:119]                // 000000007968: D3B14076 1802ED04
	v_pk_mul_f32 v[80:81], v[4:5], v[80:81]                    // 000000007970: D3B14050 1802A104
	v_pk_mul_f32 v[128:129], v[4:5], v[128:129]                // 000000007978: D3B14080 18030104
	v_pk_mul_f32 v[82:83], v[4:5], v[82:83]                    // 000000007980: D3B14052 1802A504
	v_pk_mul_f32 v[130:131], v[4:5], v[130:131]                // 000000007988: D3B14082 18030504
	v_pk_mul_f32 v[92:93], v[4:5], v[92:93]                    // 000000007990: D3B1405C 1802B904
	v_pk_mul_f32 v[140:141], v[4:5], v[140:141]                // 000000007998: D3B1408C 18031904
	v_pk_mul_f32 v[94:95], v[4:5], v[94:95]                    // 0000000079A0: D3B1405E 1802BD04
	v_pk_mul_f32 v[142:143], v[4:5], v[142:143]                // 0000000079A8: D3B1408E 18031D04
	v_mov_b32_e32 v4, v33                                      // 0000000079B0: 7E080321
	v_mov_b32_e32 v5, v4                                       // 0000000079B4: 7E0A0304
	v_pk_mul_f32 v[60:61], v[4:5], v[60:61]                    // 0000000079B8: D3B1403C 18027904
	v_pk_mul_f32 v[108:109], v[4:5], v[108:109]                // 0000000079C0: D3B1406C 1802D904
	v_pk_mul_f32 v[62:63], v[4:5], v[62:63]                    // 0000000079C8: D3B1403E 18027D04
	v_pk_mul_f32 v[110:111], v[4:5], v[110:111]                // 0000000079D0: D3B1406E 1802DD04
	v_pk_mul_f32 v[72:73], v[4:5], v[72:73]                    // 0000000079D8: D3B14048 18029104
	v_pk_mul_f32 v[120:121], v[4:5], v[120:121]                // 0000000079E0: D3B14078 1802F104
	v_pk_mul_f32 v[74:75], v[4:5], v[74:75]                    // 0000000079E8: D3B1404A 18029504
	v_pk_mul_f32 v[122:123], v[4:5], v[122:123]                // 0000000079F0: D3B1407A 1802F504
	v_pk_mul_f32 v[84:85], v[4:5], v[84:85]                    // 0000000079F8: D3B14054 1802A904
	v_pk_mul_f32 v[132:133], v[4:5], v[132:133]                // 000000007A00: D3B14084 18030904
	v_pk_mul_f32 v[86:87], v[4:5], v[86:87]                    // 000000007A08: D3B14056 1802AD04
	v_pk_mul_f32 v[134:135], v[4:5], v[134:135]                // 000000007A10: D3B14086 18030D04
	v_pk_mul_f32 v[96:97], v[4:5], v[96:97]                    // 000000007A18: D3B14060 1802C104
	v_pk_mul_f32 v[144:145], v[4:5], v[144:145]                // 000000007A20: D3B14090 18032104
	v_pk_mul_f32 v[98:99], v[4:5], v[98:99]                    // 000000007A28: D3B14062 1802C504
	v_pk_mul_f32 v[146:147], v[4:5], v[146:147]                // 000000007A30: D3B14092 18032504
	s_cmp_eq_u32 s88, 0                                        // 000000007A38: BF068058
	s_cbranch_scc0 label_1A40                                  // 000000007A3C: BF84062D
	s_cmp_eq_u32 s89, 0                                        // 000000007A40: BF068059
	s_cbranch_scc1 label_15FA                                  // 000000007A44: BF8501E5
	v_mov_b32_e32 v8, v1                                       // 000000007A48: 7E100301
	v_mov_b32_e32 v9, v1                                       // 000000007A4C: 7E120301
	s_mov_b32 s60, s6                                          // 000000007A50: BEBC0006
	s_mov_b32 s61, s6                                          // 000000007A54: BEBD0006
	v_pk_mul_f32 v[4:5], v[52:53], v[52:53]                    // 000000007A58: D3B14004 18026934
	v_pk_mul_f32 v[6:7], v[54:55], v[54:55]                    // 000000007A60: D3B14006 18026D36
	v_pk_fma_f32 v[4:5], v[4:5], s[78:79], v[8:9]              // 000000007A68: D3B04004 1C209D04
	v_pk_fma_f32 v[6:7], v[6:7], s[78:79], v[8:9]              // 000000007A70: D3B04006 1C209D06
	v_pk_mul_f32 v[4:5], v[4:5], v[52:53]                      // 000000007A78: D3B14004 18026904
	v_pk_mul_f32 v[6:7], v[6:7], v[54:55]                      // 000000007A80: D3B14006 18026D06
	v_pk_mul_f32 v[4:5], v[4:5], s[60:61]                      // 000000007A88: D3B14004 18007904
	v_pk_mul_f32 v[6:7], v[6:7], s[60:61]                      // 000000007A90: D3B14006 18007906
	v_exp_f32_e32 v4, v4                                       // 000000007A98: 7E084104
	v_exp_f32_e32 v5, v5                                       // 000000007A9C: 7E0A4105
	v_exp_f32_e32 v6, v6                                       // 000000007AA0: 7E0C4106
	v_exp_f32_e32 v7, v7                                       // 000000007AA4: 7E0E4107
	v_add_f32_e64 v4, v4, 1.0                                  // 000000007AA8: D1010004 0001E504
	v_add_f32_e64 v5, v5, 1.0                                  // 000000007AB0: D1010005 0001E505
	v_add_f32_e64 v6, v6, 1.0                                  // 000000007AB8: D1010006 0001E506
	v_add_f32_e64 v7, v7, 1.0                                  // 000000007AC0: D1010007 0001E507
	v_rcp_f32_e32 v4, v4                                       // 000000007AC8: 7E084504
	v_rcp_f32_e32 v5, v5                                       // 000000007ACC: 7E0A4505
	v_rcp_f32_e32 v6, v6                                       // 000000007AD0: 7E0C4506
	v_rcp_f32_e32 v7, v7                                       // 000000007AD4: 7E0E4507
	v_mul_f32_e32 v52, v52, v4                                 // 000000007AD8: 0A680934
	v_mul_f32_e32 v53, v53, v5                                 // 000000007ADC: 0A6A0B35
	v_mul_f32_e32 v54, v54, v6                                 // 000000007AE0: 0A6C0D36
	v_mul_f32_e32 v55, v55, v7                                 // 000000007AE4: 0A6E0F37
	v_mul_f32_e32 v52, v52, v100                               // 000000007AE8: 0A68C934
	v_mul_f32_e32 v53, v53, v101                               // 000000007AEC: 0A6ACB35
	v_mul_f32_e32 v54, v54, v102                               // 000000007AF0: 0A6CCD36
	v_mul_f32_e32 v55, v55, v103                               // 000000007AF4: 0A6ECF37
	v_pk_mul_f32 v[4:5], v[56:57], v[56:57]                    // 000000007AF8: D3B14004 18027138
	v_pk_mul_f32 v[6:7], v[58:59], v[58:59]                    // 000000007B00: D3B14006 1802753A
	v_pk_fma_f32 v[4:5], v[4:5], s[78:79], v[8:9]              // 000000007B08: D3B04004 1C209D04
	v_pk_fma_f32 v[6:7], v[6:7], s[78:79], v[8:9]              // 000000007B10: D3B04006 1C209D06
	v_pk_mul_f32 v[4:5], v[4:5], v[56:57]                      // 000000007B18: D3B14004 18027104
	v_pk_mul_f32 v[6:7], v[6:7], v[58:59]                      // 000000007B20: D3B14006 18027506
	v_pk_mul_f32 v[4:5], v[4:5], s[60:61]                      // 000000007B28: D3B14004 18007904
	v_pk_mul_f32 v[6:7], v[6:7], s[60:61]                      // 000000007B30: D3B14006 18007906
	v_exp_f32_e32 v4, v4                                       // 000000007B38: 7E084104
	v_exp_f32_e32 v5, v5                                       // 000000007B3C: 7E0A4105
	v_exp_f32_e32 v6, v6                                       // 000000007B40: 7E0C4106
	v_exp_f32_e32 v7, v7                                       // 000000007B44: 7E0E4107
	v_add_f32_e64 v4, v4, 1.0                                  // 000000007B48: D1010004 0001E504
	v_add_f32_e64 v5, v5, 1.0                                  // 000000007B50: D1010005 0001E505
	v_add_f32_e64 v6, v6, 1.0                                  // 000000007B58: D1010006 0001E506
	v_add_f32_e64 v7, v7, 1.0                                  // 000000007B60: D1010007 0001E507
	v_rcp_f32_e32 v4, v4                                       // 000000007B68: 7E084504
	v_rcp_f32_e32 v5, v5                                       // 000000007B6C: 7E0A4505
	v_rcp_f32_e32 v6, v6                                       // 000000007B70: 7E0C4506
	v_rcp_f32_e32 v7, v7                                       // 000000007B74: 7E0E4507
	v_mul_f32_e32 v56, v56, v4                                 // 000000007B78: 0A700938
	v_mul_f32_e32 v57, v57, v5                                 // 000000007B7C: 0A720B39
	v_mul_f32_e32 v58, v58, v6                                 // 000000007B80: 0A740D3A
	v_mul_f32_e32 v59, v59, v7                                 // 000000007B84: 0A760F3B
	v_mul_f32_e32 v56, v56, v104                               // 000000007B88: 0A70D138
	v_mul_f32_e32 v57, v57, v105                               // 000000007B8C: 0A72D339
	v_mul_f32_e32 v58, v58, v106                               // 000000007B90: 0A74D53A
	v_mul_f32_e32 v59, v59, v107                               // 000000007B94: 0A76D73B
	v_pk_mul_f32 v[4:5], v[60:61], v[60:61]                    // 000000007B98: D3B14004 1802793C
	v_pk_mul_f32 v[6:7], v[62:63], v[62:63]                    // 000000007BA0: D3B14006 18027D3E
	v_pk_fma_f32 v[4:5], v[4:5], s[78:79], v[8:9]              // 000000007BA8: D3B04004 1C209D04
	v_pk_fma_f32 v[6:7], v[6:7], s[78:79], v[8:9]              // 000000007BB0: D3B04006 1C209D06
	v_pk_mul_f32 v[4:5], v[4:5], v[60:61]                      // 000000007BB8: D3B14004 18027904
	v_pk_mul_f32 v[6:7], v[6:7], v[62:63]                      // 000000007BC0: D3B14006 18027D06
	v_pk_mul_f32 v[4:5], v[4:5], s[60:61]                      // 000000007BC8: D3B14004 18007904
	v_pk_mul_f32 v[6:7], v[6:7], s[60:61]                      // 000000007BD0: D3B14006 18007906
	v_exp_f32_e32 v4, v4                                       // 000000007BD8: 7E084104
	v_exp_f32_e32 v5, v5                                       // 000000007BDC: 7E0A4105
	v_exp_f32_e32 v6, v6                                       // 000000007BE0: 7E0C4106
	v_exp_f32_e32 v7, v7                                       // 000000007BE4: 7E0E4107
	v_add_f32_e64 v4, v4, 1.0                                  // 000000007BE8: D1010004 0001E504
	v_add_f32_e64 v5, v5, 1.0                                  // 000000007BF0: D1010005 0001E505
	v_add_f32_e64 v6, v6, 1.0                                  // 000000007BF8: D1010006 0001E506
	v_add_f32_e64 v7, v7, 1.0                                  // 000000007C00: D1010007 0001E507
	v_rcp_f32_e32 v4, v4                                       // 000000007C08: 7E084504
	v_rcp_f32_e32 v5, v5                                       // 000000007C0C: 7E0A4505
	v_rcp_f32_e32 v6, v6                                       // 000000007C10: 7E0C4506
	v_rcp_f32_e32 v7, v7                                       // 000000007C14: 7E0E4507
	v_mul_f32_e32 v60, v60, v4                                 // 000000007C18: 0A78093C
	v_mul_f32_e32 v61, v61, v5                                 // 000000007C1C: 0A7A0B3D
	v_mul_f32_e32 v62, v62, v6                                 // 000000007C20: 0A7C0D3E
	v_mul_f32_e32 v63, v63, v7                                 // 000000007C24: 0A7E0F3F
	v_mul_f32_e32 v60, v60, v108                               // 000000007C28: 0A78D93C
	v_mul_f32_e32 v61, v61, v109                               // 000000007C2C: 0A7ADB3D
	v_mul_f32_e32 v62, v62, v110                               // 000000007C30: 0A7CDD3E
	v_mul_f32_e32 v63, v63, v111                               // 000000007C34: 0A7EDF3F
	v_pk_mul_f32 v[4:5], v[64:65], v[64:65]                    // 000000007C38: D3B14004 18028140
	v_pk_mul_f32 v[6:7], v[66:67], v[66:67]                    // 000000007C40: D3B14006 18028542
	v_pk_fma_f32 v[4:5], v[4:5], s[78:79], v[8:9]              // 000000007C48: D3B04004 1C209D04
	v_pk_fma_f32 v[6:7], v[6:7], s[78:79], v[8:9]              // 000000007C50: D3B04006 1C209D06
	v_pk_mul_f32 v[4:5], v[4:5], v[64:65]                      // 000000007C58: D3B14004 18028104
	v_pk_mul_f32 v[6:7], v[6:7], v[66:67]                      // 000000007C60: D3B14006 18028506
	v_pk_mul_f32 v[4:5], v[4:5], s[60:61]                      // 000000007C68: D3B14004 18007904
	v_pk_mul_f32 v[6:7], v[6:7], s[60:61]                      // 000000007C70: D3B14006 18007906
	v_exp_f32_e32 v4, v4                                       // 000000007C78: 7E084104
	v_exp_f32_e32 v5, v5                                       // 000000007C7C: 7E0A4105
	v_exp_f32_e32 v6, v6                                       // 000000007C80: 7E0C4106
	v_exp_f32_e32 v7, v7                                       // 000000007C84: 7E0E4107
	v_add_f32_e64 v4, v4, 1.0                                  // 000000007C88: D1010004 0001E504
	v_add_f32_e64 v5, v5, 1.0                                  // 000000007C90: D1010005 0001E505
	v_add_f32_e64 v6, v6, 1.0                                  // 000000007C98: D1010006 0001E506
	v_add_f32_e64 v7, v7, 1.0                                  // 000000007CA0: D1010007 0001E507
	v_rcp_f32_e32 v4, v4                                       // 000000007CA8: 7E084504
	v_rcp_f32_e32 v5, v5                                       // 000000007CAC: 7E0A4505
	v_rcp_f32_e32 v6, v6                                       // 000000007CB0: 7E0C4506
	v_rcp_f32_e32 v7, v7                                       // 000000007CB4: 7E0E4507
	v_mul_f32_e32 v64, v64, v4                                 // 000000007CB8: 0A800940
	v_mul_f32_e32 v65, v65, v5                                 // 000000007CBC: 0A820B41
	v_mul_f32_e32 v66, v66, v6                                 // 000000007CC0: 0A840D42
	v_mul_f32_e32 v67, v67, v7                                 // 000000007CC4: 0A860F43
	v_mul_f32_e32 v64, v64, v112                               // 000000007CC8: 0A80E140
	v_mul_f32_e32 v65, v65, v113                               // 000000007CCC: 0A82E341
	v_mul_f32_e32 v66, v66, v114                               // 000000007CD0: 0A84E542
	v_mul_f32_e32 v67, v67, v115                               // 000000007CD4: 0A86E743
	v_pk_mul_f32 v[4:5], v[68:69], v[68:69]                    // 000000007CD8: D3B14004 18028944
	v_pk_mul_f32 v[6:7], v[70:71], v[70:71]                    // 000000007CE0: D3B14006 18028D46
	v_pk_fma_f32 v[4:5], v[4:5], s[78:79], v[8:9]              // 000000007CE8: D3B04004 1C209D04
	v_pk_fma_f32 v[6:7], v[6:7], s[78:79], v[8:9]              // 000000007CF0: D3B04006 1C209D06
	v_pk_mul_f32 v[4:5], v[4:5], v[68:69]                      // 000000007CF8: D3B14004 18028904
	v_pk_mul_f32 v[6:7], v[6:7], v[70:71]                      // 000000007D00: D3B14006 18028D06
	v_pk_mul_f32 v[4:5], v[4:5], s[60:61]                      // 000000007D08: D3B14004 18007904
	v_pk_mul_f32 v[6:7], v[6:7], s[60:61]                      // 000000007D10: D3B14006 18007906
	v_exp_f32_e32 v4, v4                                       // 000000007D18: 7E084104
	v_exp_f32_e32 v5, v5                                       // 000000007D1C: 7E0A4105
	v_exp_f32_e32 v6, v6                                       // 000000007D20: 7E0C4106
	v_exp_f32_e32 v7, v7                                       // 000000007D24: 7E0E4107
	v_add_f32_e64 v4, v4, 1.0                                  // 000000007D28: D1010004 0001E504
	v_add_f32_e64 v5, v5, 1.0                                  // 000000007D30: D1010005 0001E505
	v_add_f32_e64 v6, v6, 1.0                                  // 000000007D38: D1010006 0001E506
	v_add_f32_e64 v7, v7, 1.0                                  // 000000007D40: D1010007 0001E507
	v_rcp_f32_e32 v4, v4                                       // 000000007D48: 7E084504
	v_rcp_f32_e32 v5, v5                                       // 000000007D4C: 7E0A4505
	v_rcp_f32_e32 v6, v6                                       // 000000007D50: 7E0C4506
	v_rcp_f32_e32 v7, v7                                       // 000000007D54: 7E0E4507
	v_mul_f32_e32 v68, v68, v4                                 // 000000007D58: 0A880944
	v_mul_f32_e32 v69, v69, v5                                 // 000000007D5C: 0A8A0B45
	v_mul_f32_e32 v70, v70, v6                                 // 000000007D60: 0A8C0D46
	v_mul_f32_e32 v71, v71, v7                                 // 000000007D64: 0A8E0F47
	v_mul_f32_e32 v68, v68, v116                               // 000000007D68: 0A88E944
	v_mul_f32_e32 v69, v69, v117                               // 000000007D6C: 0A8AEB45
	v_mul_f32_e32 v70, v70, v118                               // 000000007D70: 0A8CED46
	v_mul_f32_e32 v71, v71, v119                               // 000000007D74: 0A8EEF47
	v_pk_mul_f32 v[4:5], v[72:73], v[72:73]                    // 000000007D78: D3B14004 18029148
	v_pk_mul_f32 v[6:7], v[74:75], v[74:75]                    // 000000007D80: D3B14006 1802954A
	v_pk_fma_f32 v[4:5], v[4:5], s[78:79], v[8:9]              // 000000007D88: D3B04004 1C209D04
	v_pk_fma_f32 v[6:7], v[6:7], s[78:79], v[8:9]              // 000000007D90: D3B04006 1C209D06
	v_pk_mul_f32 v[4:5], v[4:5], v[72:73]                      // 000000007D98: D3B14004 18029104
	v_pk_mul_f32 v[6:7], v[6:7], v[74:75]                      // 000000007DA0: D3B14006 18029506
	v_pk_mul_f32 v[4:5], v[4:5], s[60:61]                      // 000000007DA8: D3B14004 18007904
	v_pk_mul_f32 v[6:7], v[6:7], s[60:61]                      // 000000007DB0: D3B14006 18007906
	v_exp_f32_e32 v4, v4                                       // 000000007DB8: 7E084104
	v_exp_f32_e32 v5, v5                                       // 000000007DBC: 7E0A4105
	v_exp_f32_e32 v6, v6                                       // 000000007DC0: 7E0C4106
	v_exp_f32_e32 v7, v7                                       // 000000007DC4: 7E0E4107
	v_add_f32_e64 v4, v4, 1.0                                  // 000000007DC8: D1010004 0001E504
	v_add_f32_e64 v5, v5, 1.0                                  // 000000007DD0: D1010005 0001E505
	v_add_f32_e64 v6, v6, 1.0                                  // 000000007DD8: D1010006 0001E506
	v_add_f32_e64 v7, v7, 1.0                                  // 000000007DE0: D1010007 0001E507
	v_rcp_f32_e32 v4, v4                                       // 000000007DE8: 7E084504
	v_rcp_f32_e32 v5, v5                                       // 000000007DEC: 7E0A4505
	v_rcp_f32_e32 v6, v6                                       // 000000007DF0: 7E0C4506
	v_rcp_f32_e32 v7, v7                                       // 000000007DF4: 7E0E4507
	v_mul_f32_e32 v72, v72, v4                                 // 000000007DF8: 0A900948
	v_mul_f32_e32 v73, v73, v5                                 // 000000007DFC: 0A920B49
	v_mul_f32_e32 v74, v74, v6                                 // 000000007E00: 0A940D4A
	v_mul_f32_e32 v75, v75, v7                                 // 000000007E04: 0A960F4B
	v_mul_f32_e32 v72, v72, v120                               // 000000007E08: 0A90F148
	v_mul_f32_e32 v73, v73, v121                               // 000000007E0C: 0A92F349
	v_mul_f32_e32 v74, v74, v122                               // 000000007E10: 0A94F54A
	v_mul_f32_e32 v75, v75, v123                               // 000000007E14: 0A96F74B
	v_pk_mul_f32 v[4:5], v[76:77], v[76:77]                    // 000000007E18: D3B14004 1802994C
	v_pk_mul_f32 v[6:7], v[78:79], v[78:79]                    // 000000007E20: D3B14006 18029D4E
	v_pk_fma_f32 v[4:5], v[4:5], s[78:79], v[8:9]              // 000000007E28: D3B04004 1C209D04
	v_pk_fma_f32 v[6:7], v[6:7], s[78:79], v[8:9]              // 000000007E30: D3B04006 1C209D06
	v_pk_mul_f32 v[4:5], v[4:5], v[76:77]                      // 000000007E38: D3B14004 18029904
	v_pk_mul_f32 v[6:7], v[6:7], v[78:79]                      // 000000007E40: D3B14006 18029D06
	v_pk_mul_f32 v[4:5], v[4:5], s[60:61]                      // 000000007E48: D3B14004 18007904
	v_pk_mul_f32 v[6:7], v[6:7], s[60:61]                      // 000000007E50: D3B14006 18007906
	v_exp_f32_e32 v4, v4                                       // 000000007E58: 7E084104
	v_exp_f32_e32 v5, v5                                       // 000000007E5C: 7E0A4105
	v_exp_f32_e32 v6, v6                                       // 000000007E60: 7E0C4106
	v_exp_f32_e32 v7, v7                                       // 000000007E64: 7E0E4107
	v_add_f32_e64 v4, v4, 1.0                                  // 000000007E68: D1010004 0001E504
	v_add_f32_e64 v5, v5, 1.0                                  // 000000007E70: D1010005 0001E505
	v_add_f32_e64 v6, v6, 1.0                                  // 000000007E78: D1010006 0001E506
	v_add_f32_e64 v7, v7, 1.0                                  // 000000007E80: D1010007 0001E507
	v_rcp_f32_e32 v4, v4                                       // 000000007E88: 7E084504
	v_rcp_f32_e32 v5, v5                                       // 000000007E8C: 7E0A4505
	v_rcp_f32_e32 v6, v6                                       // 000000007E90: 7E0C4506
	v_rcp_f32_e32 v7, v7                                       // 000000007E94: 7E0E4507
	v_mul_f32_e32 v76, v76, v4                                 // 000000007E98: 0A98094C
	v_mul_f32_e32 v77, v77, v5                                 // 000000007E9C: 0A9A0B4D
	v_mul_f32_e32 v78, v78, v6                                 // 000000007EA0: 0A9C0D4E
	v_mul_f32_e32 v79, v79, v7                                 // 000000007EA4: 0A9E0F4F
	v_mul_f32_e32 v76, v76, v124                               // 000000007EA8: 0A98F94C
	v_mul_f32_e32 v77, v77, v125                               // 000000007EAC: 0A9AFB4D
	v_mul_f32_e32 v78, v78, v126                               // 000000007EB0: 0A9CFD4E
	v_mul_f32_e32 v79, v79, v127                               // 000000007EB4: 0A9EFF4F
	v_pk_mul_f32 v[4:5], v[80:81], v[80:81]                    // 000000007EB8: D3B14004 1802A150
	v_pk_mul_f32 v[6:7], v[82:83], v[82:83]                    // 000000007EC0: D3B14006 1802A552
	v_pk_fma_f32 v[4:5], v[4:5], s[78:79], v[8:9]              // 000000007EC8: D3B04004 1C209D04
	v_pk_fma_f32 v[6:7], v[6:7], s[78:79], v[8:9]              // 000000007ED0: D3B04006 1C209D06
	v_pk_mul_f32 v[4:5], v[4:5], v[80:81]                      // 000000007ED8: D3B14004 1802A104
	v_pk_mul_f32 v[6:7], v[6:7], v[82:83]                      // 000000007EE0: D3B14006 1802A506
	v_pk_mul_f32 v[4:5], v[4:5], s[60:61]                      // 000000007EE8: D3B14004 18007904
	v_pk_mul_f32 v[6:7], v[6:7], s[60:61]                      // 000000007EF0: D3B14006 18007906
	v_exp_f32_e32 v4, v4                                       // 000000007EF8: 7E084104
	v_exp_f32_e32 v5, v5                                       // 000000007EFC: 7E0A4105
	v_exp_f32_e32 v6, v6                                       // 000000007F00: 7E0C4106
	v_exp_f32_e32 v7, v7                                       // 000000007F04: 7E0E4107
	v_add_f32_e64 v4, v4, 1.0                                  // 000000007F08: D1010004 0001E504
	v_add_f32_e64 v5, v5, 1.0                                  // 000000007F10: D1010005 0001E505
	v_add_f32_e64 v6, v6, 1.0                                  // 000000007F18: D1010006 0001E506
	v_add_f32_e64 v7, v7, 1.0                                  // 000000007F20: D1010007 0001E507
	v_rcp_f32_e32 v4, v4                                       // 000000007F28: 7E084504
	v_rcp_f32_e32 v5, v5                                       // 000000007F2C: 7E0A4505
	v_rcp_f32_e32 v6, v6                                       // 000000007F30: 7E0C4506
	v_rcp_f32_e32 v7, v7                                       // 000000007F34: 7E0E4507
	v_mul_f32_e32 v80, v80, v4                                 // 000000007F38: 0AA00950
	v_mul_f32_e32 v81, v81, v5                                 // 000000007F3C: 0AA20B51
	v_mul_f32_e32 v82, v82, v6                                 // 000000007F40: 0AA40D52
	v_mul_f32_e32 v83, v83, v7                                 // 000000007F44: 0AA60F53
	v_mul_f32_e32 v80, v80, v128                               // 000000007F48: 0AA10150
	v_mul_f32_e32 v81, v81, v129                               // 000000007F4C: 0AA30351
	v_mul_f32_e32 v82, v82, v130                               // 000000007F50: 0AA50552
	v_mul_f32_e32 v83, v83, v131                               // 000000007F54: 0AA70753
	v_pk_mul_f32 v[4:5], v[84:85], v[84:85]                    // 000000007F58: D3B14004 1802A954
	v_pk_mul_f32 v[6:7], v[86:87], v[86:87]                    // 000000007F60: D3B14006 1802AD56
	v_pk_fma_f32 v[4:5], v[4:5], s[78:79], v[8:9]              // 000000007F68: D3B04004 1C209D04
	v_pk_fma_f32 v[6:7], v[6:7], s[78:79], v[8:9]              // 000000007F70: D3B04006 1C209D06
	v_pk_mul_f32 v[4:5], v[4:5], v[84:85]                      // 000000007F78: D3B14004 1802A904
	v_pk_mul_f32 v[6:7], v[6:7], v[86:87]                      // 000000007F80: D3B14006 1802AD06
	v_pk_mul_f32 v[4:5], v[4:5], s[60:61]                      // 000000007F88: D3B14004 18007904
	v_pk_mul_f32 v[6:7], v[6:7], s[60:61]                      // 000000007F90: D3B14006 18007906
	v_exp_f32_e32 v4, v4                                       // 000000007F98: 7E084104
	v_exp_f32_e32 v5, v5                                       // 000000007F9C: 7E0A4105
	v_exp_f32_e32 v6, v6                                       // 000000007FA0: 7E0C4106
	v_exp_f32_e32 v7, v7                                       // 000000007FA4: 7E0E4107
	v_add_f32_e64 v4, v4, 1.0                                  // 000000007FA8: D1010004 0001E504
	v_add_f32_e64 v5, v5, 1.0                                  // 000000007FB0: D1010005 0001E505
	v_add_f32_e64 v6, v6, 1.0                                  // 000000007FB8: D1010006 0001E506
	v_add_f32_e64 v7, v7, 1.0                                  // 000000007FC0: D1010007 0001E507
	v_rcp_f32_e32 v4, v4                                       // 000000007FC8: 7E084504
	v_rcp_f32_e32 v5, v5                                       // 000000007FCC: 7E0A4505
	v_rcp_f32_e32 v6, v6                                       // 000000007FD0: 7E0C4506
	v_rcp_f32_e32 v7, v7                                       // 000000007FD4: 7E0E4507
	v_mul_f32_e32 v84, v84, v4                                 // 000000007FD8: 0AA80954
	v_mul_f32_e32 v85, v85, v5                                 // 000000007FDC: 0AAA0B55
	v_mul_f32_e32 v86, v86, v6                                 // 000000007FE0: 0AAC0D56
	v_mul_f32_e32 v87, v87, v7                                 // 000000007FE4: 0AAE0F57
	v_mul_f32_e32 v84, v84, v132                               // 000000007FE8: 0AA90954
	v_mul_f32_e32 v85, v85, v133                               // 000000007FEC: 0AAB0B55
	v_mul_f32_e32 v86, v86, v134                               // 000000007FF0: 0AAD0D56
	v_mul_f32_e32 v87, v87, v135                               // 000000007FF4: 0AAF0F57
	v_pk_mul_f32 v[4:5], v[88:89], v[88:89]                    // 000000007FF8: D3B14004 1802B158
	v_pk_mul_f32 v[6:7], v[90:91], v[90:91]                    // 000000008000: D3B14006 1802B55A
	v_pk_fma_f32 v[4:5], v[4:5], s[78:79], v[8:9]              // 000000008008: D3B04004 1C209D04
	v_pk_fma_f32 v[6:7], v[6:7], s[78:79], v[8:9]              // 000000008010: D3B04006 1C209D06
	v_pk_mul_f32 v[4:5], v[4:5], v[88:89]                      // 000000008018: D3B14004 1802B104
	v_pk_mul_f32 v[6:7], v[6:7], v[90:91]                      // 000000008020: D3B14006 1802B506
	v_pk_mul_f32 v[4:5], v[4:5], s[60:61]                      // 000000008028: D3B14004 18007904
	v_pk_mul_f32 v[6:7], v[6:7], s[60:61]                      // 000000008030: D3B14006 18007906
	v_exp_f32_e32 v4, v4                                       // 000000008038: 7E084104
	v_exp_f32_e32 v5, v5                                       // 00000000803C: 7E0A4105
	v_exp_f32_e32 v6, v6                                       // 000000008040: 7E0C4106
	v_exp_f32_e32 v7, v7                                       // 000000008044: 7E0E4107
	v_add_f32_e64 v4, v4, 1.0                                  // 000000008048: D1010004 0001E504
	v_add_f32_e64 v5, v5, 1.0                                  // 000000008050: D1010005 0001E505
	v_add_f32_e64 v6, v6, 1.0                                  // 000000008058: D1010006 0001E506
	v_add_f32_e64 v7, v7, 1.0                                  // 000000008060: D1010007 0001E507
	v_rcp_f32_e32 v4, v4                                       // 000000008068: 7E084504
	v_rcp_f32_e32 v5, v5                                       // 00000000806C: 7E0A4505
	v_rcp_f32_e32 v6, v6                                       // 000000008070: 7E0C4506
	v_rcp_f32_e32 v7, v7                                       // 000000008074: 7E0E4507
	v_mul_f32_e32 v88, v88, v4                                 // 000000008078: 0AB00958
	v_mul_f32_e32 v89, v89, v5                                 // 00000000807C: 0AB20B59
	v_mul_f32_e32 v90, v90, v6                                 // 000000008080: 0AB40D5A
	v_mul_f32_e32 v91, v91, v7                                 // 000000008084: 0AB60F5B
	v_mul_f32_e32 v88, v88, v136                               // 000000008088: 0AB11158
	v_mul_f32_e32 v89, v89, v137                               // 00000000808C: 0AB31359
	v_mul_f32_e32 v90, v90, v138                               // 000000008090: 0AB5155A
	v_mul_f32_e32 v91, v91, v139                               // 000000008094: 0AB7175B
	v_pk_mul_f32 v[4:5], v[92:93], v[92:93]                    // 000000008098: D3B14004 1802B95C
	v_pk_mul_f32 v[6:7], v[94:95], v[94:95]                    // 0000000080A0: D3B14006 1802BD5E
	v_pk_fma_f32 v[4:5], v[4:5], s[78:79], v[8:9]              // 0000000080A8: D3B04004 1C209D04
	v_pk_fma_f32 v[6:7], v[6:7], s[78:79], v[8:9]              // 0000000080B0: D3B04006 1C209D06
	v_pk_mul_f32 v[4:5], v[4:5], v[92:93]                      // 0000000080B8: D3B14004 1802B904
	v_pk_mul_f32 v[6:7], v[6:7], v[94:95]                      // 0000000080C0: D3B14006 1802BD06
	v_pk_mul_f32 v[4:5], v[4:5], s[60:61]                      // 0000000080C8: D3B14004 18007904
	v_pk_mul_f32 v[6:7], v[6:7], s[60:61]                      // 0000000080D0: D3B14006 18007906
	v_exp_f32_e32 v4, v4                                       // 0000000080D8: 7E084104
	v_exp_f32_e32 v5, v5                                       // 0000000080DC: 7E0A4105
	v_exp_f32_e32 v6, v6                                       // 0000000080E0: 7E0C4106
	v_exp_f32_e32 v7, v7                                       // 0000000080E4: 7E0E4107
	v_add_f32_e64 v4, v4, 1.0                                  // 0000000080E8: D1010004 0001E504
	v_add_f32_e64 v5, v5, 1.0                                  // 0000000080F0: D1010005 0001E505
	v_add_f32_e64 v6, v6, 1.0                                  // 0000000080F8: D1010006 0001E506
	v_add_f32_e64 v7, v7, 1.0                                  // 000000008100: D1010007 0001E507
	v_rcp_f32_e32 v4, v4                                       // 000000008108: 7E084504
	v_rcp_f32_e32 v5, v5                                       // 00000000810C: 7E0A4505
	v_rcp_f32_e32 v6, v6                                       // 000000008110: 7E0C4506
	v_rcp_f32_e32 v7, v7                                       // 000000008114: 7E0E4507
	v_mul_f32_e32 v92, v92, v4                                 // 000000008118: 0AB8095C
	v_mul_f32_e32 v93, v93, v5                                 // 00000000811C: 0ABA0B5D
	v_mul_f32_e32 v94, v94, v6                                 // 000000008120: 0ABC0D5E
	v_mul_f32_e32 v95, v95, v7                                 // 000000008124: 0ABE0F5F
	v_mul_f32_e32 v92, v92, v140                               // 000000008128: 0AB9195C
	v_mul_f32_e32 v93, v93, v141                               // 00000000812C: 0ABB1B5D
	v_mul_f32_e32 v94, v94, v142                               // 000000008130: 0ABD1D5E
	v_mul_f32_e32 v95, v95, v143                               // 000000008134: 0ABF1F5F
	v_pk_mul_f32 v[4:5], v[96:97], v[96:97]                    // 000000008138: D3B14004 1802C160
	v_pk_mul_f32 v[6:7], v[98:99], v[98:99]                    // 000000008140: D3B14006 1802C562
	v_pk_fma_f32 v[4:5], v[4:5], s[78:79], v[8:9]              // 000000008148: D3B04004 1C209D04
	v_pk_fma_f32 v[6:7], v[6:7], s[78:79], v[8:9]              // 000000008150: D3B04006 1C209D06
	v_pk_mul_f32 v[4:5], v[4:5], v[96:97]                      // 000000008158: D3B14004 1802C104
	v_pk_mul_f32 v[6:7], v[6:7], v[98:99]                      // 000000008160: D3B14006 1802C506
	v_pk_mul_f32 v[4:5], v[4:5], s[60:61]                      // 000000008168: D3B14004 18007904
	v_pk_mul_f32 v[6:7], v[6:7], s[60:61]                      // 000000008170: D3B14006 18007906
	v_exp_f32_e32 v4, v4                                       // 000000008178: 7E084104
	v_exp_f32_e32 v5, v5                                       // 00000000817C: 7E0A4105
	v_exp_f32_e32 v6, v6                                       // 000000008180: 7E0C4106
	v_exp_f32_e32 v7, v7                                       // 000000008184: 7E0E4107
	v_add_f32_e64 v4, v4, 1.0                                  // 000000008188: D1010004 0001E504
	v_add_f32_e64 v5, v5, 1.0                                  // 000000008190: D1010005 0001E505
	v_add_f32_e64 v6, v6, 1.0                                  // 000000008198: D1010006 0001E506
	v_add_f32_e64 v7, v7, 1.0                                  // 0000000081A0: D1010007 0001E507
	v_rcp_f32_e32 v4, v4                                       // 0000000081A8: 7E084504
	v_rcp_f32_e32 v5, v5                                       // 0000000081AC: 7E0A4505
	v_rcp_f32_e32 v6, v6                                       // 0000000081B0: 7E0C4506
	v_rcp_f32_e32 v7, v7                                       // 0000000081B4: 7E0E4507
	v_mul_f32_e32 v96, v96, v4                                 // 0000000081B8: 0AC00960
	v_mul_f32_e32 v97, v97, v5                                 // 0000000081BC: 0AC20B61
	v_mul_f32_e32 v98, v98, v6                                 // 0000000081C0: 0AC40D62
	v_mul_f32_e32 v99, v99, v7                                 // 0000000081C4: 0AC60F63
	v_mul_f32_e32 v96, v96, v144                               // 0000000081C8: 0AC12160
	v_mul_f32_e32 v97, v97, v145                               // 0000000081CC: 0AC32361
	v_mul_f32_e32 v98, v98, v146                               // 0000000081D0: 0AC52562
	v_mul_f32_e32 v99, v99, v147                               // 0000000081D4: 0AC72763
	s_branch label_177A                                        // 0000000081D8: BF820180

00000000000081dc <label_15FA>:
	v_mul_f32_e64 v4, -v52, s6                                 // 0000000081DC: D1050004 20000D34
	v_mul_f32_e64 v5, -v53, s6                                 // 0000000081E4: D1050005 20000D35
	v_mul_f32_e64 v6, -v54, s6                                 // 0000000081EC: D1050006 20000D36
	v_mul_f32_e64 v7, -v55, s6                                 // 0000000081F4: D1050007 20000D37
	v_exp_f32_e32 v4, v4                                       // 0000000081FC: 7E084104
	v_exp_f32_e32 v5, v5                                       // 000000008200: 7E0A4105
	v_exp_f32_e32 v6, v6                                       // 000000008204: 7E0C4106
	v_exp_f32_e32 v7, v7                                       // 000000008208: 7E0E4107
	v_add_f32_e64 v4, v4, 1.0                                  // 00000000820C: D1010004 0001E504
	v_add_f32_e64 v5, v5, 1.0                                  // 000000008214: D1010005 0001E505
	v_add_f32_e64 v6, v6, 1.0                                  // 00000000821C: D1010006 0001E506
	v_add_f32_e64 v7, v7, 1.0                                  // 000000008224: D1010007 0001E507
	v_rcp_f32_e32 v4, v4                                       // 00000000822C: 7E084504
	v_rcp_f32_e32 v5, v5                                       // 000000008230: 7E0A4505
	v_rcp_f32_e32 v6, v6                                       // 000000008234: 7E0C4506
	v_rcp_f32_e32 v7, v7                                       // 000000008238: 7E0E4507
	v_mul_f32_e32 v52, v52, v4                                 // 00000000823C: 0A680934
	v_mul_f32_e32 v53, v53, v5                                 // 000000008240: 0A6A0B35
	v_mul_f32_e32 v54, v54, v6                                 // 000000008244: 0A6C0D36
	v_mul_f32_e32 v55, v55, v7                                 // 000000008248: 0A6E0F37
	v_mul_f32_e32 v52, v52, v100                               // 00000000824C: 0A68C934
	v_mul_f32_e32 v53, v53, v101                               // 000000008250: 0A6ACB35
	v_mul_f32_e32 v54, v54, v102                               // 000000008254: 0A6CCD36
	v_mul_f32_e32 v55, v55, v103                               // 000000008258: 0A6ECF37
	v_mul_f32_e64 v4, -v56, s6                                 // 00000000825C: D1050004 20000D38
	v_mul_f32_e64 v5, -v57, s6                                 // 000000008264: D1050005 20000D39
	v_mul_f32_e64 v6, -v58, s6                                 // 00000000826C: D1050006 20000D3A
	v_mul_f32_e64 v7, -v59, s6                                 // 000000008274: D1050007 20000D3B
	v_exp_f32_e32 v4, v4                                       // 00000000827C: 7E084104
	v_exp_f32_e32 v5, v5                                       // 000000008280: 7E0A4105
	v_exp_f32_e32 v6, v6                                       // 000000008284: 7E0C4106
	v_exp_f32_e32 v7, v7                                       // 000000008288: 7E0E4107
	v_add_f32_e64 v4, v4, 1.0                                  // 00000000828C: D1010004 0001E504
	v_add_f32_e64 v5, v5, 1.0                                  // 000000008294: D1010005 0001E505
	v_add_f32_e64 v6, v6, 1.0                                  // 00000000829C: D1010006 0001E506
	v_add_f32_e64 v7, v7, 1.0                                  // 0000000082A4: D1010007 0001E507
	v_rcp_f32_e32 v4, v4                                       // 0000000082AC: 7E084504
	v_rcp_f32_e32 v5, v5                                       // 0000000082B0: 7E0A4505
	v_rcp_f32_e32 v6, v6                                       // 0000000082B4: 7E0C4506
	v_rcp_f32_e32 v7, v7                                       // 0000000082B8: 7E0E4507
	v_mul_f32_e32 v56, v56, v4                                 // 0000000082BC: 0A700938
	v_mul_f32_e32 v57, v57, v5                                 // 0000000082C0: 0A720B39
	v_mul_f32_e32 v58, v58, v6                                 // 0000000082C4: 0A740D3A
	v_mul_f32_e32 v59, v59, v7                                 // 0000000082C8: 0A760F3B
	v_mul_f32_e32 v56, v56, v104                               // 0000000082CC: 0A70D138
	v_mul_f32_e32 v57, v57, v105                               // 0000000082D0: 0A72D339
	v_mul_f32_e32 v58, v58, v106                               // 0000000082D4: 0A74D53A
	v_mul_f32_e32 v59, v59, v107                               // 0000000082D8: 0A76D73B
	v_mul_f32_e64 v4, -v60, s6                                 // 0000000082DC: D1050004 20000D3C
	v_mul_f32_e64 v5, -v61, s6                                 // 0000000082E4: D1050005 20000D3D
	v_mul_f32_e64 v6, -v62, s6                                 // 0000000082EC: D1050006 20000D3E
	v_mul_f32_e64 v7, -v63, s6                                 // 0000000082F4: D1050007 20000D3F
	v_exp_f32_e32 v4, v4                                       // 0000000082FC: 7E084104
	v_exp_f32_e32 v5, v5                                       // 000000008300: 7E0A4105
	v_exp_f32_e32 v6, v6                                       // 000000008304: 7E0C4106
	v_exp_f32_e32 v7, v7                                       // 000000008308: 7E0E4107
	v_add_f32_e64 v4, v4, 1.0                                  // 00000000830C: D1010004 0001E504
	v_add_f32_e64 v5, v5, 1.0                                  // 000000008314: D1010005 0001E505
	v_add_f32_e64 v6, v6, 1.0                                  // 00000000831C: D1010006 0001E506
	v_add_f32_e64 v7, v7, 1.0                                  // 000000008324: D1010007 0001E507
	v_rcp_f32_e32 v4, v4                                       // 00000000832C: 7E084504
	v_rcp_f32_e32 v5, v5                                       // 000000008330: 7E0A4505
	v_rcp_f32_e32 v6, v6                                       // 000000008334: 7E0C4506
	v_rcp_f32_e32 v7, v7                                       // 000000008338: 7E0E4507
	v_mul_f32_e32 v60, v60, v4                                 // 00000000833C: 0A78093C
	v_mul_f32_e32 v61, v61, v5                                 // 000000008340: 0A7A0B3D
	v_mul_f32_e32 v62, v62, v6                                 // 000000008344: 0A7C0D3E
	v_mul_f32_e32 v63, v63, v7                                 // 000000008348: 0A7E0F3F
	v_mul_f32_e32 v60, v60, v108                               // 00000000834C: 0A78D93C
	v_mul_f32_e32 v61, v61, v109                               // 000000008350: 0A7ADB3D
	v_mul_f32_e32 v62, v62, v110                               // 000000008354: 0A7CDD3E
	v_mul_f32_e32 v63, v63, v111                               // 000000008358: 0A7EDF3F
	v_mul_f32_e64 v4, -v64, s6                                 // 00000000835C: D1050004 20000D40
	v_mul_f32_e64 v5, -v65, s6                                 // 000000008364: D1050005 20000D41
	v_mul_f32_e64 v6, -v66, s6                                 // 00000000836C: D1050006 20000D42
	v_mul_f32_e64 v7, -v67, s6                                 // 000000008374: D1050007 20000D43
	v_exp_f32_e32 v4, v4                                       // 00000000837C: 7E084104
	v_exp_f32_e32 v5, v5                                       // 000000008380: 7E0A4105
	v_exp_f32_e32 v6, v6                                       // 000000008384: 7E0C4106
	v_exp_f32_e32 v7, v7                                       // 000000008388: 7E0E4107
	v_add_f32_e64 v4, v4, 1.0                                  // 00000000838C: D1010004 0001E504
	v_add_f32_e64 v5, v5, 1.0                                  // 000000008394: D1010005 0001E505
	v_add_f32_e64 v6, v6, 1.0                                  // 00000000839C: D1010006 0001E506
	v_add_f32_e64 v7, v7, 1.0                                  // 0000000083A4: D1010007 0001E507
	v_rcp_f32_e32 v4, v4                                       // 0000000083AC: 7E084504
	v_rcp_f32_e32 v5, v5                                       // 0000000083B0: 7E0A4505
	v_rcp_f32_e32 v6, v6                                       // 0000000083B4: 7E0C4506
	v_rcp_f32_e32 v7, v7                                       // 0000000083B8: 7E0E4507
	v_mul_f32_e32 v64, v64, v4                                 // 0000000083BC: 0A800940
	v_mul_f32_e32 v65, v65, v5                                 // 0000000083C0: 0A820B41
	v_mul_f32_e32 v66, v66, v6                                 // 0000000083C4: 0A840D42
	v_mul_f32_e32 v67, v67, v7                                 // 0000000083C8: 0A860F43
	v_mul_f32_e32 v64, v64, v112                               // 0000000083CC: 0A80E140
	v_mul_f32_e32 v65, v65, v113                               // 0000000083D0: 0A82E341
	v_mul_f32_e32 v66, v66, v114                               // 0000000083D4: 0A84E542
	v_mul_f32_e32 v67, v67, v115                               // 0000000083D8: 0A86E743
	v_mul_f32_e64 v4, -v68, s6                                 // 0000000083DC: D1050004 20000D44
	v_mul_f32_e64 v5, -v69, s6                                 // 0000000083E4: D1050005 20000D45
	v_mul_f32_e64 v6, -v70, s6                                 // 0000000083EC: D1050006 20000D46
	v_mul_f32_e64 v7, -v71, s6                                 // 0000000083F4: D1050007 20000D47
	v_exp_f32_e32 v4, v4                                       // 0000000083FC: 7E084104
	v_exp_f32_e32 v5, v5                                       // 000000008400: 7E0A4105
	v_exp_f32_e32 v6, v6                                       // 000000008404: 7E0C4106
	v_exp_f32_e32 v7, v7                                       // 000000008408: 7E0E4107
	v_add_f32_e64 v4, v4, 1.0                                  // 00000000840C: D1010004 0001E504
	v_add_f32_e64 v5, v5, 1.0                                  // 000000008414: D1010005 0001E505
	v_add_f32_e64 v6, v6, 1.0                                  // 00000000841C: D1010006 0001E506
	v_add_f32_e64 v7, v7, 1.0                                  // 000000008424: D1010007 0001E507
	v_rcp_f32_e32 v4, v4                                       // 00000000842C: 7E084504
	v_rcp_f32_e32 v5, v5                                       // 000000008430: 7E0A4505
	v_rcp_f32_e32 v6, v6                                       // 000000008434: 7E0C4506
	v_rcp_f32_e32 v7, v7                                       // 000000008438: 7E0E4507
	v_mul_f32_e32 v68, v68, v4                                 // 00000000843C: 0A880944
	v_mul_f32_e32 v69, v69, v5                                 // 000000008440: 0A8A0B45
	v_mul_f32_e32 v70, v70, v6                                 // 000000008444: 0A8C0D46
	v_mul_f32_e32 v71, v71, v7                                 // 000000008448: 0A8E0F47
	v_mul_f32_e32 v68, v68, v116                               // 00000000844C: 0A88E944
	v_mul_f32_e32 v69, v69, v117                               // 000000008450: 0A8AEB45
	v_mul_f32_e32 v70, v70, v118                               // 000000008454: 0A8CED46
	v_mul_f32_e32 v71, v71, v119                               // 000000008458: 0A8EEF47
	v_mul_f32_e64 v4, -v72, s6                                 // 00000000845C: D1050004 20000D48
	v_mul_f32_e64 v5, -v73, s6                                 // 000000008464: D1050005 20000D49
	v_mul_f32_e64 v6, -v74, s6                                 // 00000000846C: D1050006 20000D4A
	v_mul_f32_e64 v7, -v75, s6                                 // 000000008474: D1050007 20000D4B
	v_exp_f32_e32 v4, v4                                       // 00000000847C: 7E084104
	v_exp_f32_e32 v5, v5                                       // 000000008480: 7E0A4105
	v_exp_f32_e32 v6, v6                                       // 000000008484: 7E0C4106
	v_exp_f32_e32 v7, v7                                       // 000000008488: 7E0E4107
	v_add_f32_e64 v4, v4, 1.0                                  // 00000000848C: D1010004 0001E504
	v_add_f32_e64 v5, v5, 1.0                                  // 000000008494: D1010005 0001E505
	v_add_f32_e64 v6, v6, 1.0                                  // 00000000849C: D1010006 0001E506
	v_add_f32_e64 v7, v7, 1.0                                  // 0000000084A4: D1010007 0001E507
	v_rcp_f32_e32 v4, v4                                       // 0000000084AC: 7E084504
	v_rcp_f32_e32 v5, v5                                       // 0000000084B0: 7E0A4505
	v_rcp_f32_e32 v6, v6                                       // 0000000084B4: 7E0C4506
	v_rcp_f32_e32 v7, v7                                       // 0000000084B8: 7E0E4507
	v_mul_f32_e32 v72, v72, v4                                 // 0000000084BC: 0A900948
	v_mul_f32_e32 v73, v73, v5                                 // 0000000084C0: 0A920B49
	v_mul_f32_e32 v74, v74, v6                                 // 0000000084C4: 0A940D4A
	v_mul_f32_e32 v75, v75, v7                                 // 0000000084C8: 0A960F4B
	v_mul_f32_e32 v72, v72, v120                               // 0000000084CC: 0A90F148
	v_mul_f32_e32 v73, v73, v121                               // 0000000084D0: 0A92F349
	v_mul_f32_e32 v74, v74, v122                               // 0000000084D4: 0A94F54A
	v_mul_f32_e32 v75, v75, v123                               // 0000000084D8: 0A96F74B
	v_mul_f32_e64 v4, -v76, s6                                 // 0000000084DC: D1050004 20000D4C
	v_mul_f32_e64 v5, -v77, s6                                 // 0000000084E4: D1050005 20000D4D
	v_mul_f32_e64 v6, -v78, s6                                 // 0000000084EC: D1050006 20000D4E
	v_mul_f32_e64 v7, -v79, s6                                 // 0000000084F4: D1050007 20000D4F
	v_exp_f32_e32 v4, v4                                       // 0000000084FC: 7E084104
	v_exp_f32_e32 v5, v5                                       // 000000008500: 7E0A4105
	v_exp_f32_e32 v6, v6                                       // 000000008504: 7E0C4106
	v_exp_f32_e32 v7, v7                                       // 000000008508: 7E0E4107
	v_add_f32_e64 v4, v4, 1.0                                  // 00000000850C: D1010004 0001E504
	v_add_f32_e64 v5, v5, 1.0                                  // 000000008514: D1010005 0001E505
	v_add_f32_e64 v6, v6, 1.0                                  // 00000000851C: D1010006 0001E506
	v_add_f32_e64 v7, v7, 1.0                                  // 000000008524: D1010007 0001E507
	v_rcp_f32_e32 v4, v4                                       // 00000000852C: 7E084504
	v_rcp_f32_e32 v5, v5                                       // 000000008530: 7E0A4505
	v_rcp_f32_e32 v6, v6                                       // 000000008534: 7E0C4506
	v_rcp_f32_e32 v7, v7                                       // 000000008538: 7E0E4507
	v_mul_f32_e32 v76, v76, v4                                 // 00000000853C: 0A98094C
	v_mul_f32_e32 v77, v77, v5                                 // 000000008540: 0A9A0B4D
	v_mul_f32_e32 v78, v78, v6                                 // 000000008544: 0A9C0D4E
	v_mul_f32_e32 v79, v79, v7                                 // 000000008548: 0A9E0F4F
	v_mul_f32_e32 v76, v76, v124                               // 00000000854C: 0A98F94C
	v_mul_f32_e32 v77, v77, v125                               // 000000008550: 0A9AFB4D
	v_mul_f32_e32 v78, v78, v126                               // 000000008554: 0A9CFD4E
	v_mul_f32_e32 v79, v79, v127                               // 000000008558: 0A9EFF4F
	v_mul_f32_e64 v4, -v80, s6                                 // 00000000855C: D1050004 20000D50
	v_mul_f32_e64 v5, -v81, s6                                 // 000000008564: D1050005 20000D51
	v_mul_f32_e64 v6, -v82, s6                                 // 00000000856C: D1050006 20000D52
	v_mul_f32_e64 v7, -v83, s6                                 // 000000008574: D1050007 20000D53
	v_exp_f32_e32 v4, v4                                       // 00000000857C: 7E084104
	v_exp_f32_e32 v5, v5                                       // 000000008580: 7E0A4105
	v_exp_f32_e32 v6, v6                                       // 000000008584: 7E0C4106
	v_exp_f32_e32 v7, v7                                       // 000000008588: 7E0E4107
	v_add_f32_e64 v4, v4, 1.0                                  // 00000000858C: D1010004 0001E504
	v_add_f32_e64 v5, v5, 1.0                                  // 000000008594: D1010005 0001E505
	v_add_f32_e64 v6, v6, 1.0                                  // 00000000859C: D1010006 0001E506
	v_add_f32_e64 v7, v7, 1.0                                  // 0000000085A4: D1010007 0001E507
	v_rcp_f32_e32 v4, v4                                       // 0000000085AC: 7E084504
	v_rcp_f32_e32 v5, v5                                       // 0000000085B0: 7E0A4505
	v_rcp_f32_e32 v6, v6                                       // 0000000085B4: 7E0C4506
	v_rcp_f32_e32 v7, v7                                       // 0000000085B8: 7E0E4507
	v_mul_f32_e32 v80, v80, v4                                 // 0000000085BC: 0AA00950
	v_mul_f32_e32 v81, v81, v5                                 // 0000000085C0: 0AA20B51
	v_mul_f32_e32 v82, v82, v6                                 // 0000000085C4: 0AA40D52
	v_mul_f32_e32 v83, v83, v7                                 // 0000000085C8: 0AA60F53
	v_mul_f32_e32 v80, v80, v128                               // 0000000085CC: 0AA10150
	v_mul_f32_e32 v81, v81, v129                               // 0000000085D0: 0AA30351
	v_mul_f32_e32 v82, v82, v130                               // 0000000085D4: 0AA50552
	v_mul_f32_e32 v83, v83, v131                               // 0000000085D8: 0AA70753
	v_mul_f32_e64 v4, -v84, s6                                 // 0000000085DC: D1050004 20000D54
	v_mul_f32_e64 v5, -v85, s6                                 // 0000000085E4: D1050005 20000D55
	v_mul_f32_e64 v6, -v86, s6                                 // 0000000085EC: D1050006 20000D56
	v_mul_f32_e64 v7, -v87, s6                                 // 0000000085F4: D1050007 20000D57
	v_exp_f32_e32 v4, v4                                       // 0000000085FC: 7E084104
	v_exp_f32_e32 v5, v5                                       // 000000008600: 7E0A4105
	v_exp_f32_e32 v6, v6                                       // 000000008604: 7E0C4106
	v_exp_f32_e32 v7, v7                                       // 000000008608: 7E0E4107
	v_add_f32_e64 v4, v4, 1.0                                  // 00000000860C: D1010004 0001E504
	v_add_f32_e64 v5, v5, 1.0                                  // 000000008614: D1010005 0001E505
	v_add_f32_e64 v6, v6, 1.0                                  // 00000000861C: D1010006 0001E506
	v_add_f32_e64 v7, v7, 1.0                                  // 000000008624: D1010007 0001E507
	v_rcp_f32_e32 v4, v4                                       // 00000000862C: 7E084504
	v_rcp_f32_e32 v5, v5                                       // 000000008630: 7E0A4505
	v_rcp_f32_e32 v6, v6                                       // 000000008634: 7E0C4506
	v_rcp_f32_e32 v7, v7                                       // 000000008638: 7E0E4507
	v_mul_f32_e32 v84, v84, v4                                 // 00000000863C: 0AA80954
	v_mul_f32_e32 v85, v85, v5                                 // 000000008640: 0AAA0B55
	v_mul_f32_e32 v86, v86, v6                                 // 000000008644: 0AAC0D56
	v_mul_f32_e32 v87, v87, v7                                 // 000000008648: 0AAE0F57
	v_mul_f32_e32 v84, v84, v132                               // 00000000864C: 0AA90954
	v_mul_f32_e32 v85, v85, v133                               // 000000008650: 0AAB0B55
	v_mul_f32_e32 v86, v86, v134                               // 000000008654: 0AAD0D56
	v_mul_f32_e32 v87, v87, v135                               // 000000008658: 0AAF0F57
	v_mul_f32_e64 v4, -v88, s6                                 // 00000000865C: D1050004 20000D58
	v_mul_f32_e64 v5, -v89, s6                                 // 000000008664: D1050005 20000D59
	v_mul_f32_e64 v6, -v90, s6                                 // 00000000866C: D1050006 20000D5A
	v_mul_f32_e64 v7, -v91, s6                                 // 000000008674: D1050007 20000D5B
	v_exp_f32_e32 v4, v4                                       // 00000000867C: 7E084104
	v_exp_f32_e32 v5, v5                                       // 000000008680: 7E0A4105
	v_exp_f32_e32 v6, v6                                       // 000000008684: 7E0C4106
	v_exp_f32_e32 v7, v7                                       // 000000008688: 7E0E4107
	v_add_f32_e64 v4, v4, 1.0                                  // 00000000868C: D1010004 0001E504
	v_add_f32_e64 v5, v5, 1.0                                  // 000000008694: D1010005 0001E505
	v_add_f32_e64 v6, v6, 1.0                                  // 00000000869C: D1010006 0001E506
	v_add_f32_e64 v7, v7, 1.0                                  // 0000000086A4: D1010007 0001E507
	v_rcp_f32_e32 v4, v4                                       // 0000000086AC: 7E084504
	v_rcp_f32_e32 v5, v5                                       // 0000000086B0: 7E0A4505
	v_rcp_f32_e32 v6, v6                                       // 0000000086B4: 7E0C4506
	v_rcp_f32_e32 v7, v7                                       // 0000000086B8: 7E0E4507
	v_mul_f32_e32 v88, v88, v4                                 // 0000000086BC: 0AB00958
	v_mul_f32_e32 v89, v89, v5                                 // 0000000086C0: 0AB20B59
	v_mul_f32_e32 v90, v90, v6                                 // 0000000086C4: 0AB40D5A
	v_mul_f32_e32 v91, v91, v7                                 // 0000000086C8: 0AB60F5B
	v_mul_f32_e32 v88, v88, v136                               // 0000000086CC: 0AB11158
	v_mul_f32_e32 v89, v89, v137                               // 0000000086D0: 0AB31359
	v_mul_f32_e32 v90, v90, v138                               // 0000000086D4: 0AB5155A
	v_mul_f32_e32 v91, v91, v139                               // 0000000086D8: 0AB7175B
	v_mul_f32_e64 v4, -v92, s6                                 // 0000000086DC: D1050004 20000D5C
	v_mul_f32_e64 v5, -v93, s6                                 // 0000000086E4: D1050005 20000D5D
	v_mul_f32_e64 v6, -v94, s6                                 // 0000000086EC: D1050006 20000D5E
	v_mul_f32_e64 v7, -v95, s6                                 // 0000000086F4: D1050007 20000D5F
	v_exp_f32_e32 v4, v4                                       // 0000000086FC: 7E084104
	v_exp_f32_e32 v5, v5                                       // 000000008700: 7E0A4105
	v_exp_f32_e32 v6, v6                                       // 000000008704: 7E0C4106
	v_exp_f32_e32 v7, v7                                       // 000000008708: 7E0E4107
	v_add_f32_e64 v4, v4, 1.0                                  // 00000000870C: D1010004 0001E504
	v_add_f32_e64 v5, v5, 1.0                                  // 000000008714: D1010005 0001E505
	v_add_f32_e64 v6, v6, 1.0                                  // 00000000871C: D1010006 0001E506
	v_add_f32_e64 v7, v7, 1.0                                  // 000000008724: D1010007 0001E507
	v_rcp_f32_e32 v4, v4                                       // 00000000872C: 7E084504
	v_rcp_f32_e32 v5, v5                                       // 000000008730: 7E0A4505
	v_rcp_f32_e32 v6, v6                                       // 000000008734: 7E0C4506
	v_rcp_f32_e32 v7, v7                                       // 000000008738: 7E0E4507
	v_mul_f32_e32 v92, v92, v4                                 // 00000000873C: 0AB8095C
	v_mul_f32_e32 v93, v93, v5                                 // 000000008740: 0ABA0B5D
	v_mul_f32_e32 v94, v94, v6                                 // 000000008744: 0ABC0D5E
	v_mul_f32_e32 v95, v95, v7                                 // 000000008748: 0ABE0F5F
	v_mul_f32_e32 v92, v92, v140                               // 00000000874C: 0AB9195C
	v_mul_f32_e32 v93, v93, v141                               // 000000008750: 0ABB1B5D
	v_mul_f32_e32 v94, v94, v142                               // 000000008754: 0ABD1D5E
	v_mul_f32_e32 v95, v95, v143                               // 000000008758: 0ABF1F5F
	v_mul_f32_e64 v4, -v96, s6                                 // 00000000875C: D1050004 20000D60
	v_mul_f32_e64 v5, -v97, s6                                 // 000000008764: D1050005 20000D61
	v_mul_f32_e64 v6, -v98, s6                                 // 00000000876C: D1050006 20000D62
	v_mul_f32_e64 v7, -v99, s6                                 // 000000008774: D1050007 20000D63
	v_exp_f32_e32 v4, v4                                       // 00000000877C: 7E084104
	v_exp_f32_e32 v5, v5                                       // 000000008780: 7E0A4105
	v_exp_f32_e32 v6, v6                                       // 000000008784: 7E0C4106
	v_exp_f32_e32 v7, v7                                       // 000000008788: 7E0E4107
	v_add_f32_e64 v4, v4, 1.0                                  // 00000000878C: D1010004 0001E504
	v_add_f32_e64 v5, v5, 1.0                                  // 000000008794: D1010005 0001E505
	v_add_f32_e64 v6, v6, 1.0                                  // 00000000879C: D1010006 0001E506
	v_add_f32_e64 v7, v7, 1.0                                  // 0000000087A4: D1010007 0001E507
	v_rcp_f32_e32 v4, v4                                       // 0000000087AC: 7E084504
	v_rcp_f32_e32 v5, v5                                       // 0000000087B0: 7E0A4505
	v_rcp_f32_e32 v6, v6                                       // 0000000087B4: 7E0C4506
	v_rcp_f32_e32 v7, v7                                       // 0000000087B8: 7E0E4507
	v_mul_f32_e32 v96, v96, v4                                 // 0000000087BC: 0AC00960
	v_mul_f32_e32 v97, v97, v5                                 // 0000000087C0: 0AC20B61
	v_mul_f32_e32 v98, v98, v6                                 // 0000000087C4: 0AC40D62
	v_mul_f32_e32 v99, v99, v7                                 // 0000000087C8: 0AC60F63
	v_mul_f32_e32 v96, v96, v144                               // 0000000087CC: 0AC12160
	v_mul_f32_e32 v97, v97, v145                               // 0000000087D0: 0AC32361
	v_mul_f32_e32 v98, v98, v146                               // 0000000087D4: 0AC52562
	v_mul_f32_e32 v99, v99, v147                               // 0000000087D8: 0AC72763

00000000000087dc <label_177A>:
	v_cmp_u_f32_e64 s[46:47], v52, v52                         // 0000000087DC: D048002E 00026934
	v_add3_u32 v16, v52, v19, 1                                // 0000000087E4: D1FF0010 02062734
	v_cndmask_b32_e64 v4, v16, v18, s[46:47]                   // 0000000087EC: D1000004 00BA2510
	v_cmp_u_f32_e64 s[46:47], v53, v53                         // 0000000087F4: D048002E 00026B35
	v_add3_u32 v16, v53, v19, 1                                // 0000000087FC: D1FF0010 02062735
	v_cndmask_b32_e64 v5, v16, v18, s[46:47]                   // 000000008804: D1000005 00BA2510
	v_perm_b32 v52, v5, v4, s52                                // 00000000880C: D1ED0034 00D20905
	v_cmp_u_f32_e64 s[46:47], v54, v54                         // 000000008814: D048002E 00026D36
	v_add3_u32 v16, v54, v19, 1                                // 00000000881C: D1FF0010 02062736
	v_cndmask_b32_e64 v4, v16, v18, s[46:47]                   // 000000008824: D1000004 00BA2510
	v_cmp_u_f32_e64 s[46:47], v55, v55                         // 00000000882C: D048002E 00026F37
	v_add3_u32 v16, v55, v19, 1                                // 000000008834: D1FF0010 02062737
	v_cndmask_b32_e64 v5, v16, v18, s[46:47]                   // 00000000883C: D1000005 00BA2510
	v_perm_b32 v53, v5, v4, s52                                // 000000008844: D1ED0035 00D20905
	v_cmp_u_f32_e64 s[46:47], v56, v56                         // 00000000884C: D048002E 00027138
	v_add3_u32 v16, v56, v19, 1                                // 000000008854: D1FF0010 02062738
	v_cndmask_b32_e64 v4, v16, v18, s[46:47]                   // 00000000885C: D1000004 00BA2510
	v_cmp_u_f32_e64 s[46:47], v57, v57                         // 000000008864: D048002E 00027339
	v_add3_u32 v16, v57, v19, 1                                // 00000000886C: D1FF0010 02062739
	v_cndmask_b32_e64 v5, v16, v18, s[46:47]                   // 000000008874: D1000005 00BA2510
	v_perm_b32 v54, v5, v4, s52                                // 00000000887C: D1ED0036 00D20905
	v_cmp_u_f32_e64 s[46:47], v58, v58                         // 000000008884: D048002E 0002753A
	v_add3_u32 v16, v58, v19, 1                                // 00000000888C: D1FF0010 0206273A
	v_cndmask_b32_e64 v4, v16, v18, s[46:47]                   // 000000008894: D1000004 00BA2510
	v_cmp_u_f32_e64 s[46:47], v59, v59                         // 00000000889C: D048002E 0002773B
	v_add3_u32 v16, v59, v19, 1                                // 0000000088A4: D1FF0010 0206273B
	v_cndmask_b32_e64 v5, v16, v18, s[46:47]                   // 0000000088AC: D1000005 00BA2510
	v_perm_b32 v55, v5, v4, s52                                // 0000000088B4: D1ED0037 00D20905
	v_cmp_u_f32_e64 s[46:47], v60, v60                         // 0000000088BC: D048002E 0002793C
	v_add3_u32 v16, v60, v19, 1                                // 0000000088C4: D1FF0010 0206273C
	v_cndmask_b32_e64 v4, v16, v18, s[46:47]                   // 0000000088CC: D1000004 00BA2510
	v_cmp_u_f32_e64 s[46:47], v61, v61                         // 0000000088D4: D048002E 00027B3D
	v_add3_u32 v16, v61, v19, 1                                // 0000000088DC: D1FF0010 0206273D
	v_cndmask_b32_e64 v5, v16, v18, s[46:47]                   // 0000000088E4: D1000005 00BA2510
	v_perm_b32 v56, v5, v4, s52                                // 0000000088EC: D1ED0038 00D20905
	v_cmp_u_f32_e64 s[46:47], v62, v62                         // 0000000088F4: D048002E 00027D3E
	v_add3_u32 v16, v62, v19, 1                                // 0000000088FC: D1FF0010 0206273E
	v_cndmask_b32_e64 v4, v16, v18, s[46:47]                   // 000000008904: D1000004 00BA2510
	v_cmp_u_f32_e64 s[46:47], v63, v63                         // 00000000890C: D048002E 00027F3F
	v_add3_u32 v16, v63, v19, 1                                // 000000008914: D1FF0010 0206273F
	v_cndmask_b32_e64 v5, v16, v18, s[46:47]                   // 00000000891C: D1000005 00BA2510
	v_perm_b32 v57, v5, v4, s52                                // 000000008924: D1ED0039 00D20905
	v_cmp_u_f32_e64 s[46:47], v64, v64                         // 00000000892C: D048002E 00028140
	v_add3_u32 v16, v64, v19, 1                                // 000000008934: D1FF0010 02062740
	v_cndmask_b32_e64 v4, v16, v18, s[46:47]                   // 00000000893C: D1000004 00BA2510
	v_cmp_u_f32_e64 s[46:47], v65, v65                         // 000000008944: D048002E 00028341
	v_add3_u32 v16, v65, v19, 1                                // 00000000894C: D1FF0010 02062741
	v_cndmask_b32_e64 v5, v16, v18, s[46:47]                   // 000000008954: D1000005 00BA2510
	v_perm_b32 v58, v5, v4, s52                                // 00000000895C: D1ED003A 00D20905
	v_cmp_u_f32_e64 s[46:47], v66, v66                         // 000000008964: D048002E 00028542
	v_add3_u32 v16, v66, v19, 1                                // 00000000896C: D1FF0010 02062742
	v_cndmask_b32_e64 v4, v16, v18, s[46:47]                   // 000000008974: D1000004 00BA2510
	v_cmp_u_f32_e64 s[46:47], v67, v67                         // 00000000897C: D048002E 00028743
	v_add3_u32 v16, v67, v19, 1                                // 000000008984: D1FF0010 02062743
	v_cndmask_b32_e64 v5, v16, v18, s[46:47]                   // 00000000898C: D1000005 00BA2510
	v_perm_b32 v59, v5, v4, s52                                // 000000008994: D1ED003B 00D20905
	v_cmp_u_f32_e64 s[46:47], v68, v68                         // 00000000899C: D048002E 00028944
	v_add3_u32 v16, v68, v19, 1                                // 0000000089A4: D1FF0010 02062744
	v_cndmask_b32_e64 v4, v16, v18, s[46:47]                   // 0000000089AC: D1000004 00BA2510
	v_cmp_u_f32_e64 s[46:47], v69, v69                         // 0000000089B4: D048002E 00028B45
	v_add3_u32 v16, v69, v19, 1                                // 0000000089BC: D1FF0010 02062745
	v_cndmask_b32_e64 v5, v16, v18, s[46:47]                   // 0000000089C4: D1000005 00BA2510
	v_perm_b32 v60, v5, v4, s52                                // 0000000089CC: D1ED003C 00D20905
	v_cmp_u_f32_e64 s[46:47], v70, v70                         // 0000000089D4: D048002E 00028D46
	v_add3_u32 v16, v70, v19, 1                                // 0000000089DC: D1FF0010 02062746
	v_cndmask_b32_e64 v4, v16, v18, s[46:47]                   // 0000000089E4: D1000004 00BA2510
	v_cmp_u_f32_e64 s[46:47], v71, v71                         // 0000000089EC: D048002E 00028F47
	v_add3_u32 v16, v71, v19, 1                                // 0000000089F4: D1FF0010 02062747
	v_cndmask_b32_e64 v5, v16, v18, s[46:47]                   // 0000000089FC: D1000005 00BA2510
	v_perm_b32 v61, v5, v4, s52                                // 000000008A04: D1ED003D 00D20905
	v_cmp_u_f32_e64 s[46:47], v72, v72                         // 000000008A0C: D048002E 00029148
	v_add3_u32 v16, v72, v19, 1                                // 000000008A14: D1FF0010 02062748
	v_cndmask_b32_e64 v4, v16, v18, s[46:47]                   // 000000008A1C: D1000004 00BA2510
	v_cmp_u_f32_e64 s[46:47], v73, v73                         // 000000008A24: D048002E 00029349
	v_add3_u32 v16, v73, v19, 1                                // 000000008A2C: D1FF0010 02062749
	v_cndmask_b32_e64 v5, v16, v18, s[46:47]                   // 000000008A34: D1000005 00BA2510
	v_perm_b32 v62, v5, v4, s52                                // 000000008A3C: D1ED003E 00D20905
	v_cmp_u_f32_e64 s[46:47], v74, v74                         // 000000008A44: D048002E 0002954A
	v_add3_u32 v16, v74, v19, 1                                // 000000008A4C: D1FF0010 0206274A
	v_cndmask_b32_e64 v4, v16, v18, s[46:47]                   // 000000008A54: D1000004 00BA2510
	v_cmp_u_f32_e64 s[46:47], v75, v75                         // 000000008A5C: D048002E 0002974B
	v_add3_u32 v16, v75, v19, 1                                // 000000008A64: D1FF0010 0206274B
	v_cndmask_b32_e64 v5, v16, v18, s[46:47]                   // 000000008A6C: D1000005 00BA2510
	v_perm_b32 v63, v5, v4, s52                                // 000000008A74: D1ED003F 00D20905
	v_cmp_u_f32_e64 s[46:47], v76, v76                         // 000000008A7C: D048002E 0002994C
	v_add3_u32 v16, v76, v19, 1                                // 000000008A84: D1FF0010 0206274C
	v_cndmask_b32_e64 v4, v16, v18, s[46:47]                   // 000000008A8C: D1000004 00BA2510
	v_cmp_u_f32_e64 s[46:47], v77, v77                         // 000000008A94: D048002E 00029B4D
	v_add3_u32 v16, v77, v19, 1                                // 000000008A9C: D1FF0010 0206274D
	v_cndmask_b32_e64 v5, v16, v18, s[46:47]                   // 000000008AA4: D1000005 00BA2510
	v_perm_b32 v64, v5, v4, s52                                // 000000008AAC: D1ED0040 00D20905
	v_cmp_u_f32_e64 s[46:47], v78, v78                         // 000000008AB4: D048002E 00029D4E
	v_add3_u32 v16, v78, v19, 1                                // 000000008ABC: D1FF0010 0206274E
	v_cndmask_b32_e64 v4, v16, v18, s[46:47]                   // 000000008AC4: D1000004 00BA2510
	v_cmp_u_f32_e64 s[46:47], v79, v79                         // 000000008ACC: D048002E 00029F4F
	v_add3_u32 v16, v79, v19, 1                                // 000000008AD4: D1FF0010 0206274F
	v_cndmask_b32_e64 v5, v16, v18, s[46:47]                   // 000000008ADC: D1000005 00BA2510
	v_perm_b32 v65, v5, v4, s52                                // 000000008AE4: D1ED0041 00D20905
	v_cmp_u_f32_e64 s[46:47], v80, v80                         // 000000008AEC: D048002E 0002A150
	v_add3_u32 v16, v80, v19, 1                                // 000000008AF4: D1FF0010 02062750
	v_cndmask_b32_e64 v4, v16, v18, s[46:47]                   // 000000008AFC: D1000004 00BA2510
	v_cmp_u_f32_e64 s[46:47], v81, v81                         // 000000008B04: D048002E 0002A351
	v_add3_u32 v16, v81, v19, 1                                // 000000008B0C: D1FF0010 02062751
	v_cndmask_b32_e64 v5, v16, v18, s[46:47]                   // 000000008B14: D1000005 00BA2510
	v_perm_b32 v66, v5, v4, s52                                // 000000008B1C: D1ED0042 00D20905
	v_cmp_u_f32_e64 s[46:47], v82, v82                         // 000000008B24: D048002E 0002A552
	v_add3_u32 v16, v82, v19, 1                                // 000000008B2C: D1FF0010 02062752
	v_cndmask_b32_e64 v4, v16, v18, s[46:47]                   // 000000008B34: D1000004 00BA2510
	v_cmp_u_f32_e64 s[46:47], v83, v83                         // 000000008B3C: D048002E 0002A753
	v_add3_u32 v16, v83, v19, 1                                // 000000008B44: D1FF0010 02062753
	v_cndmask_b32_e64 v5, v16, v18, s[46:47]                   // 000000008B4C: D1000005 00BA2510
	v_perm_b32 v67, v5, v4, s52                                // 000000008B54: D1ED0043 00D20905
	v_cmp_u_f32_e64 s[46:47], v84, v84                         // 000000008B5C: D048002E 0002A954
	v_add3_u32 v16, v84, v19, 1                                // 000000008B64: D1FF0010 02062754
	v_cndmask_b32_e64 v4, v16, v18, s[46:47]                   // 000000008B6C: D1000004 00BA2510
	v_cmp_u_f32_e64 s[46:47], v85, v85                         // 000000008B74: D048002E 0002AB55
	v_add3_u32 v16, v85, v19, 1                                // 000000008B7C: D1FF0010 02062755
	v_cndmask_b32_e64 v5, v16, v18, s[46:47]                   // 000000008B84: D1000005 00BA2510
	v_perm_b32 v68, v5, v4, s52                                // 000000008B8C: D1ED0044 00D20905
	v_cmp_u_f32_e64 s[46:47], v86, v86                         // 000000008B94: D048002E 0002AD56
	v_add3_u32 v16, v86, v19, 1                                // 000000008B9C: D1FF0010 02062756
	v_cndmask_b32_e64 v4, v16, v18, s[46:47]                   // 000000008BA4: D1000004 00BA2510
	v_cmp_u_f32_e64 s[46:47], v87, v87                         // 000000008BAC: D048002E 0002AF57
	v_add3_u32 v16, v87, v19, 1                                // 000000008BB4: D1FF0010 02062757
	v_cndmask_b32_e64 v5, v16, v18, s[46:47]                   // 000000008BBC: D1000005 00BA2510
	v_perm_b32 v69, v5, v4, s52                                // 000000008BC4: D1ED0045 00D20905
	v_cmp_u_f32_e64 s[46:47], v88, v88                         // 000000008BCC: D048002E 0002B158
	v_add3_u32 v16, v88, v19, 1                                // 000000008BD4: D1FF0010 02062758
	v_cndmask_b32_e64 v4, v16, v18, s[46:47]                   // 000000008BDC: D1000004 00BA2510
	v_cmp_u_f32_e64 s[46:47], v89, v89                         // 000000008BE4: D048002E 0002B359
	v_add3_u32 v16, v89, v19, 1                                // 000000008BEC: D1FF0010 02062759
	v_cndmask_b32_e64 v5, v16, v18, s[46:47]                   // 000000008BF4: D1000005 00BA2510
	v_perm_b32 v70, v5, v4, s52                                // 000000008BFC: D1ED0046 00D20905
	v_cmp_u_f32_e64 s[46:47], v90, v90                         // 000000008C04: D048002E 0002B55A
	v_add3_u32 v16, v90, v19, 1                                // 000000008C0C: D1FF0010 0206275A
	v_cndmask_b32_e64 v4, v16, v18, s[46:47]                   // 000000008C14: D1000004 00BA2510
	v_cmp_u_f32_e64 s[46:47], v91, v91                         // 000000008C1C: D048002E 0002B75B
	v_add3_u32 v16, v91, v19, 1                                // 000000008C24: D1FF0010 0206275B
	v_cndmask_b32_e64 v5, v16, v18, s[46:47]                   // 000000008C2C: D1000005 00BA2510
	v_perm_b32 v71, v5, v4, s52                                // 000000008C34: D1ED0047 00D20905
	v_cmp_u_f32_e64 s[46:47], v92, v92                         // 000000008C3C: D048002E 0002B95C
	v_add3_u32 v16, v92, v19, 1                                // 000000008C44: D1FF0010 0206275C
	v_cndmask_b32_e64 v4, v16, v18, s[46:47]                   // 000000008C4C: D1000004 00BA2510
	v_cmp_u_f32_e64 s[46:47], v93, v93                         // 000000008C54: D048002E 0002BB5D
	v_add3_u32 v16, v93, v19, 1                                // 000000008C5C: D1FF0010 0206275D
	v_cndmask_b32_e64 v5, v16, v18, s[46:47]                   // 000000008C64: D1000005 00BA2510
	v_perm_b32 v72, v5, v4, s52                                // 000000008C6C: D1ED0048 00D20905
	v_cmp_u_f32_e64 s[46:47], v94, v94                         // 000000008C74: D048002E 0002BD5E
	v_add3_u32 v16, v94, v19, 1                                // 000000008C7C: D1FF0010 0206275E
	v_cndmask_b32_e64 v4, v16, v18, s[46:47]                   // 000000008C84: D1000004 00BA2510
	v_cmp_u_f32_e64 s[46:47], v95, v95                         // 000000008C8C: D048002E 0002BF5F
	v_add3_u32 v16, v95, v19, 1                                // 000000008C94: D1FF0010 0206275F
	v_cndmask_b32_e64 v5, v16, v18, s[46:47]                   // 000000008C9C: D1000005 00BA2510
	v_perm_b32 v73, v5, v4, s52                                // 000000008CA4: D1ED0049 00D20905
	v_cmp_u_f32_e64 s[46:47], v96, v96                         // 000000008CAC: D048002E 0002C160
	v_add3_u32 v16, v96, v19, 1                                // 000000008CB4: D1FF0010 02062760
	v_cndmask_b32_e64 v4, v16, v18, s[46:47]                   // 000000008CBC: D1000004 00BA2510
	v_cmp_u_f32_e64 s[46:47], v97, v97                         // 000000008CC4: D048002E 0002C361
	v_add3_u32 v16, v97, v19, 1                                // 000000008CCC: D1FF0010 02062761
	v_cndmask_b32_e64 v5, v16, v18, s[46:47]                   // 000000008CD4: D1000005 00BA2510
	v_perm_b32 v74, v5, v4, s52                                // 000000008CDC: D1ED004A 00D20905
	v_cmp_u_f32_e64 s[46:47], v98, v98                         // 000000008CE4: D048002E 0002C562
	v_add3_u32 v16, v98, v19, 1                                // 000000008CEC: D1FF0010 02062762
	v_cndmask_b32_e64 v4, v16, v18, s[46:47]                   // 000000008CF4: D1000004 00BA2510
	v_cmp_u_f32_e64 s[46:47], v99, v99                         // 000000008CFC: D048002E 0002C763
	v_add3_u32 v16, v99, v19, 1                                // 000000008D04: D1FF0010 02062763
	v_cndmask_b32_e64 v5, v16, v18, s[46:47]                   // 000000008D0C: D1000005 00BA2510
	v_perm_b32 v75, v5, v4, s52                                // 000000008D14: D1ED004B 00D20905
	ds_write_b64 v20, v[52:53]                                 // 000000008D1C: D89A0000 00003414
	ds_write_b64 v20, v[54:55] offset:8704                     // 000000008D24: D89A2200 00003614
	ds_write_b64 v20, v[56:57] offset:17408                    // 000000008D2C: D89A4400 00003814
	ds_write_b64 v20, v[58:59] offset:2176                     // 000000008D34: D89A0880 00003A14
	ds_write_b64 v20, v[60:61] offset:10880                    // 000000008D3C: D89A2A80 00003C14
	ds_write_b64 v20, v[62:63] offset:19584                    // 000000008D44: D89A4C80 00003E14
	ds_write_b64 v20, v[64:65] offset:4352                     // 000000008D4C: D89A1100 00004014
	ds_write_b64 v20, v[66:67] offset:13056                    // 000000008D54: D89A3300 00004214
	ds_write_b64 v20, v[68:69] offset:21760                    // 000000008D5C: D89A5500 00004414
	ds_write_b64 v20, v[70:71] offset:6528                     // 000000008D64: D89A1980 00004614
	ds_write_b64 v20, v[72:73] offset:15232                    // 000000008D6C: D89A3B80 00004814
	ds_write_b64 v20, v[74:75] offset:23936                    // 000000008D74: D89A5D80 00004A14
	v_lshrrev_b32_e32 v4, 5, v0                                // 000000008D7C: 20080085
	v_xor_b32_e32 v5, 1, v4                                    // 000000008D80: 2A0A0881
	s_mul_i32 s60, s65, 2                                      // 000000008D84: 923C8241
	s_cmp_eq_u32 s88, 0                                        // 000000008D88: BF068058
	s_cselect_b32 s61, 1, 4                                    // 000000008D8C: 853D8481
	s_mul_i32 s60, s61, s60                                    // 000000008D90: 923C3C3D
	v_readlane_b32 s82, v3, 0                                  // 000000008D94: D2890052 00010103
	s_lshr_b32 s61, s82, 24                                    // 000000008D9C: 8F3D9852
	s_and_b32 s82, s82, 0xffffff                               // 000000008DA0: 8652FF52 00FFFFFF
	s_mul_i32 s82, s82, s71                                    // 000000008DA8: 92524752
	s_mul_i32 s61, s60, s61                                    // 000000008DAC: 923D3D3C
	s_add_u32 s82, s82, s61                                    // 000000008DB0: 80523D52
	v_mul_lo_u32 v6, v5, s82                                   // 000000008DB4: D2850006 0000A505
	v_readlane_b32 s82, v3, 1                                  // 000000008DBC: D2890052 00010303
	s_lshr_b32 s61, s82, 24                                    // 000000008DC4: 8F3D9852
	s_and_b32 s82, s82, 0xffffff                               // 000000008DC8: 8652FF52 00FFFFFF
	s_mul_i32 s82, s82, s71                                    // 000000008DD0: 92524752
	s_mul_i32 s61, s60, s61                                    // 000000008DD4: 923D3D3C
	s_add_u32 s82, s82, s61                                    // 000000008DD8: 80523D52
	v_mul_lo_u32 v7, v4, s82                                   // 000000008DDC: D2850007 0000A504
	v_add_u32_e32 v40, v6, v7                                  // 000000008DE4: 68500F06
	v_readlane_b32 s82, v3, 2                                  // 000000008DE8: D2890052 00010503
	s_lshr_b32 s61, s82, 24                                    // 000000008DF0: 8F3D9852
	s_and_b32 s82, s82, 0xffffff                               // 000000008DF4: 8652FF52 00FFFFFF
	s_mul_i32 s82, s82, s71                                    // 000000008DFC: 92524752
	s_mul_i32 s61, s60, s61                                    // 000000008E00: 923D3D3C
	s_add_u32 s82, s82, s61                                    // 000000008E04: 80523D52
	v_mul_lo_u32 v6, v5, s82                                   // 000000008E08: D2850006 0000A505
	v_readlane_b32 s82, v3, 3                                  // 000000008E10: D2890052 00010703
	s_lshr_b32 s61, s82, 24                                    // 000000008E18: 8F3D9852
	s_and_b32 s82, s82, 0xffffff                               // 000000008E1C: 8652FF52 00FFFFFF
	s_mul_i32 s82, s82, s71                                    // 000000008E24: 92524752
	s_mul_i32 s61, s60, s61                                    // 000000008E28: 923D3D3C
	s_add_u32 s82, s82, s61                                    // 000000008E2C: 80523D52
	v_mul_lo_u32 v7, v4, s82                                   // 000000008E30: D2850007 0000A504
	v_add_u32_e32 v41, v6, v7                                  // 000000008E38: 68520F06
	v_readlane_b32 s82, v3, 4                                  // 000000008E3C: D2890052 00010903
	s_lshr_b32 s61, s82, 24                                    // 000000008E44: 8F3D9852
	s_and_b32 s82, s82, 0xffffff                               // 000000008E48: 8652FF52 00FFFFFF
	s_mul_i32 s82, s82, s71                                    // 000000008E50: 92524752
	s_mul_i32 s61, s60, s61                                    // 000000008E54: 923D3D3C
	s_add_u32 s82, s82, s61                                    // 000000008E58: 80523D52
	v_mul_lo_u32 v6, v5, s82                                   // 000000008E5C: D2850006 0000A505
	v_readlane_b32 s82, v3, 5                                  // 000000008E64: D2890052 00010B03
	s_lshr_b32 s61, s82, 24                                    // 000000008E6C: 8F3D9852
	s_and_b32 s82, s82, 0xffffff                               // 000000008E70: 8652FF52 00FFFFFF
	s_mul_i32 s82, s82, s71                                    // 000000008E78: 92524752
	s_mul_i32 s61, s60, s61                                    // 000000008E7C: 923D3D3C
	s_add_u32 s82, s82, s61                                    // 000000008E80: 80523D52
	v_mul_lo_u32 v7, v4, s82                                   // 000000008E84: D2850007 0000A504
	v_add_u32_e32 v42, v6, v7                                  // 000000008E8C: 68540F06
	v_readlane_b32 s82, v3, 6                                  // 000000008E90: D2890052 00010D03
	s_lshr_b32 s61, s82, 24                                    // 000000008E98: 8F3D9852
	s_and_b32 s82, s82, 0xffffff                               // 000000008E9C: 8652FF52 00FFFFFF
	s_mul_i32 s82, s82, s71                                    // 000000008EA4: 92524752
	s_mul_i32 s61, s60, s61                                    // 000000008EA8: 923D3D3C
	s_add_u32 s82, s82, s61                                    // 000000008EAC: 80523D52
	v_mul_lo_u32 v6, v5, s82                                   // 000000008EB0: D2850006 0000A505
	v_readlane_b32 s82, v3, 7                                  // 000000008EB8: D2890052 00010F03
	s_lshr_b32 s61, s82, 24                                    // 000000008EC0: 8F3D9852
	s_and_b32 s82, s82, 0xffffff                               // 000000008EC4: 8652FF52 00FFFFFF
	s_mul_i32 s82, s82, s71                                    // 000000008ECC: 92524752
	s_mul_i32 s61, s60, s61                                    // 000000008ED0: 923D3D3C
	s_add_u32 s82, s82, s61                                    // 000000008ED4: 80523D52
	v_mul_lo_u32 v7, v4, s82                                   // 000000008ED8: D2850007 0000A504
	v_add_u32_e32 v43, v6, v7                                  // 000000008EE0: 68560F06
	v_readlane_b32 s82, v3, 8                                  // 000000008EE4: D2890052 00011103
	s_lshr_b32 s61, s82, 24                                    // 000000008EEC: 8F3D9852
	s_and_b32 s82, s82, 0xffffff                               // 000000008EF0: 8652FF52 00FFFFFF
	s_mul_i32 s82, s82, s71                                    // 000000008EF8: 92524752
	s_mul_i32 s61, s60, s61                                    // 000000008EFC: 923D3D3C
	s_add_u32 s82, s82, s61                                    // 000000008F00: 80523D52
	v_mul_lo_u32 v6, v5, s82                                   // 000000008F04: D2850006 0000A505
	v_readlane_b32 s82, v3, 9                                  // 000000008F0C: D2890052 00011303
	s_lshr_b32 s61, s82, 24                                    // 000000008F14: 8F3D9852
	s_and_b32 s82, s82, 0xffffff                               // 000000008F18: 8652FF52 00FFFFFF
	s_mul_i32 s82, s82, s71                                    // 000000008F20: 92524752
	s_mul_i32 s61, s60, s61                                    // 000000008F24: 923D3D3C
	s_add_u32 s82, s82, s61                                    // 000000008F28: 80523D52
	v_mul_lo_u32 v7, v4, s82                                   // 000000008F2C: D2850007 0000A504
	v_add_u32_e32 v44, v6, v7                                  // 000000008F34: 68580F06
	v_readlane_b32 s82, v3, 10                                 // 000000008F38: D2890052 00011503
	s_lshr_b32 s61, s82, 24                                    // 000000008F40: 8F3D9852
	s_and_b32 s82, s82, 0xffffff                               // 000000008F44: 8652FF52 00FFFFFF
	s_mul_i32 s82, s82, s71                                    // 000000008F4C: 92524752
	s_mul_i32 s61, s60, s61                                    // 000000008F50: 923D3D3C
	s_add_u32 s82, s82, s61                                    // 000000008F54: 80523D52
	v_mul_lo_u32 v6, v5, s82                                   // 000000008F58: D2850006 0000A505
	v_readlane_b32 s82, v3, 11                                 // 000000008F60: D2890052 00011703
	s_lshr_b32 s61, s82, 24                                    // 000000008F68: 8F3D9852
	s_and_b32 s82, s82, 0xffffff                               // 000000008F6C: 8652FF52 00FFFFFF
	s_mul_i32 s82, s82, s71                                    // 000000008F74: 92524752
	s_mul_i32 s61, s60, s61                                    // 000000008F78: 923D3D3C
	s_add_u32 s82, s82, s61                                    // 000000008F7C: 80523D52
	v_mul_lo_u32 v7, v4, s82                                   // 000000008F80: D2850007 0000A504
	v_add_u32_e32 v45, v6, v7                                  // 000000008F88: 685A0F06
	v_and_b32_e32 v4, 31, v0                                   // 000000008F8C: 2608009F
	v_lshrrev_b32_e32 v4, 1, v4                                // 000000008F90: 20080881
	s_cmp_eq_u32 s88, 0                                        // 000000008F94: BF068058
	s_cselect_b32 s61, 2, 4                                    // 000000008F98: 853D8482
	v_mul_lo_u32 v4, v4, s61                                   // 000000008F9C: D2850004 00007B04
	v_and_b32_e64 v5, v0, 1                                    // 000000008FA4: D1130005 00010300
	v_add_u32_e32 v4, v4, v5                                   // 000000008FAC: 68080B04
	v_lshlrev_b32_e32 v4, 2, v4                                // 000000008FB0: 24080882
	v_add_u32_e32 v40, v40, v4                                 // 000000008FB4: 68500928
	v_add_u32_e32 v41, v41, v4                                 // 000000008FB8: 68520929
	v_add_u32_e32 v42, v42, v4                                 // 000000008FBC: 6854092A
	v_add_u32_e32 v43, v43, v4                                 // 000000008FC0: 6856092B
	v_add_u32_e32 v44, v44, v4                                 // 000000008FC4: 6858092C
	v_add_u32_e32 v45, v45, v4                                 // 000000008FC8: 685A092D
	s_waitcnt lgkmcnt(0)                                       // 000000008FCC: BF8CC07F
	s_barrier                                                  // 000000008FD0: BF8A0000
	ds_read_b32 v52, v21                                       // 000000008FD4: D86C0000 34000015
	ds_read_b32 v53, v21 offset:64                             // 000000008FDC: D86C0040 35000015
	ds_read_b32 v54, v21 offset:2176                           // 000000008FE4: D86C0880 36000015
	ds_read_b32 v55, v21 offset:2240                           // 000000008FEC: D86C08C0 37000015
	ds_read_b32 v56, v21 offset:4352                           // 000000008FF4: D86C1100 38000015
	ds_read_b32 v57, v21 offset:4416                           // 000000008FFC: D86C1140 39000015
	ds_read_b32 v58, v21 offset:6528                           // 000000009004: D86C1980 3A000015
	ds_read_b32 v59, v21 offset:6592                           // 00000000900C: D86C19C0 3B000015
	ds_read_b32 v60, v21 offset:8704                           // 000000009014: D86C2200 3C000015
	ds_read_b32 v61, v21 offset:8768                           // 00000000901C: D86C2240 3D000015
	ds_read_b32 v62, v21 offset:10880                          // 000000009024: D86C2A80 3E000015
	ds_read_b32 v63, v21 offset:10944                          // 00000000902C: D86C2AC0 3F000015
	ds_read_b32 v64, v21 offset:13056                          // 000000009034: D86C3300 40000015
	ds_read_b32 v65, v21 offset:13120                          // 00000000903C: D86C3340 41000015
	ds_read_b32 v66, v21 offset:15232                          // 000000009044: D86C3B80 42000015
	ds_read_b32 v67, v21 offset:15296                          // 00000000904C: D86C3BC0 43000015
	ds_read_b32 v68, v21 offset:17408                          // 000000009054: D86C4400 44000015
	ds_read_b32 v69, v21 offset:17472                          // 00000000905C: D86C4440 45000015
	ds_read_b32 v70, v21 offset:19584                          // 000000009064: D86C4C80 46000015
	ds_read_b32 v71, v21 offset:19648                          // 00000000906C: D86C4CC0 47000015
	ds_read_b32 v72, v21 offset:21760                          // 000000009074: D86C5500 48000015
	ds_read_b32 v73, v21 offset:21824                          // 00000000907C: D86C5540 49000015
	ds_read_b32 v74, v21 offset:23936                          // 000000009084: D86C5D80 4A000015
	ds_read_b32 v75, v21 offset:24000                          // 00000000908C: D86C5DC0 4B000015
	s_waitcnt lgkmcnt(0)                                       // 000000009094: BF8CC07F
	s_mov_b32 s36, -1                                          // 000000009098: BEA400C1
	s_mov_b32 s37, -1                                          // 00000000909C: BEA500C1
	v_mov_b32_e32 v7, 0                                        // 0000000090A0: 7E0E0280
	s_or_b32 s9, s9, 0x40000                                   // 0000000090A4: 8709FF09 00040000
	s_mov_b64 exec, s[36:37]                                   // 0000000090AC: BEFE0124
	v_mov_b32_e32 v6, v40                                      // 0000000090B0: 7E0C0328
	s_mov_b64 s[60:61], 0                                      // 0000000090B4: BEBC0180
	v_readlane_b32 s82, v3, 0                                  // 0000000090B8: D2890052 00010103
	s_and_b32 s82, s82, 0xffffff                               // 0000000090C0: 8652FF52 00FFFFFF
	s_cmp_lt_u32 s82, s66                                      // 0000000090C8: BF0A4252
	s_cselect_b32 s20, s36, s60                                // 0000000090CC: 85143C24
	v_readlane_b32 s82, v3, 1                                  // 0000000090D0: D2890052 00010303
	s_and_b32 s82, s82, 0xffffff                               // 0000000090D8: 8652FF52 00FFFFFF
	s_cmp_lt_u32 s82, s66                                      // 0000000090E0: BF0A4252
	s_cselect_b32 s21, s36, s60                                // 0000000090E4: 85153C24
	s_mov_b64 exec, s[20:21]                                   // 0000000090E8: BEFE0114
	buffer_store_dword v52, v6, s[8:11], 0 offen               // 0000000090EC: E0701000 80023406
	buffer_store_dword v54, v6, s[8:11], 0 offen offset:128    // 0000000090F4: E0701080 80023606
	buffer_store_dword v56, v6, s[8:11], 0 offen offset:256    // 0000000090FC: E0701100 80023806
	buffer_store_dword v58, v6, s[8:11], 0 offen offset:384    // 000000009104: E0701180 80023A06
	s_mov_b64 exec, s[36:37]                                   // 00000000910C: BEFE0124
	v_mov_b32_e32 v6, v41                                      // 000000009110: 7E0C0329
	s_mov_b64 s[60:61], 0                                      // 000000009114: BEBC0180
	v_readlane_b32 s82, v3, 2                                  // 000000009118: D2890052 00010503
	s_and_b32 s82, s82, 0xffffff                               // 000000009120: 8652FF52 00FFFFFF
	s_cmp_lt_u32 s82, s66                                      // 000000009128: BF0A4252
	s_cselect_b32 s20, s36, s60                                // 00000000912C: 85143C24
	v_readlane_b32 s82, v3, 3                                  // 000000009130: D2890052 00010703
	s_and_b32 s82, s82, 0xffffff                               // 000000009138: 8652FF52 00FFFFFF
	s_cmp_lt_u32 s82, s66                                      // 000000009140: BF0A4252
	s_cselect_b32 s21, s36, s60                                // 000000009144: 85153C24
	s_mov_b64 exec, s[20:21]                                   // 000000009148: BEFE0114
	buffer_store_dword v53, v6, s[8:11], 0 offen               // 00000000914C: E0701000 80023506
	buffer_store_dword v55, v6, s[8:11], 0 offen offset:128    // 000000009154: E0701080 80023706
	buffer_store_dword v57, v6, s[8:11], 0 offen offset:256    // 00000000915C: E0701100 80023906
	buffer_store_dword v59, v6, s[8:11], 0 offen offset:384    // 000000009164: E0701180 80023B06
	s_mov_b64 exec, s[36:37]                                   // 00000000916C: BEFE0124
	v_mov_b32_e32 v6, v42                                      // 000000009170: 7E0C032A
	s_mov_b64 s[60:61], 0                                      // 000000009174: BEBC0180
	v_readlane_b32 s82, v3, 4                                  // 000000009178: D2890052 00010903
	s_and_b32 s82, s82, 0xffffff                               // 000000009180: 8652FF52 00FFFFFF
	s_cmp_lt_u32 s82, s66                                      // 000000009188: BF0A4252
	s_cselect_b32 s20, s36, s60                                // 00000000918C: 85143C24
	v_readlane_b32 s82, v3, 5                                  // 000000009190: D2890052 00010B03
	s_and_b32 s82, s82, 0xffffff                               // 000000009198: 8652FF52 00FFFFFF
	s_cmp_lt_u32 s82, s66                                      // 0000000091A0: BF0A4252
	s_cselect_b32 s21, s36, s60                                // 0000000091A4: 85153C24
	s_mov_b64 exec, s[20:21]                                   // 0000000091A8: BEFE0114
	buffer_store_dword v60, v6, s[8:11], 0 offen               // 0000000091AC: E0701000 80023C06
	buffer_store_dword v62, v6, s[8:11], 0 offen offset:128    // 0000000091B4: E0701080 80023E06
	buffer_store_dword v64, v6, s[8:11], 0 offen offset:256    // 0000000091BC: E0701100 80024006
	buffer_store_dword v66, v6, s[8:11], 0 offen offset:384    // 0000000091C4: E0701180 80024206
	s_mov_b64 exec, s[36:37]                                   // 0000000091CC: BEFE0124
	v_mov_b32_e32 v6, v43                                      // 0000000091D0: 7E0C032B
	s_mov_b64 s[60:61], 0                                      // 0000000091D4: BEBC0180
	v_readlane_b32 s82, v3, 6                                  // 0000000091D8: D2890052 00010D03
	s_and_b32 s82, s82, 0xffffff                               // 0000000091E0: 8652FF52 00FFFFFF
	s_cmp_lt_u32 s82, s66                                      // 0000000091E8: BF0A4252
	s_cselect_b32 s20, s36, s60                                // 0000000091EC: 85143C24
	v_readlane_b32 s82, v3, 7                                  // 0000000091F0: D2890052 00010F03
	s_and_b32 s82, s82, 0xffffff                               // 0000000091F8: 8652FF52 00FFFFFF
	s_cmp_lt_u32 s82, s66                                      // 000000009200: BF0A4252
	s_cselect_b32 s21, s36, s60                                // 000000009204: 85153C24
	s_mov_b64 exec, s[20:21]                                   // 000000009208: BEFE0114
	buffer_store_dword v61, v6, s[8:11], 0 offen               // 00000000920C: E0701000 80023D06
	buffer_store_dword v63, v6, s[8:11], 0 offen offset:128    // 000000009214: E0701080 80023F06
	buffer_store_dword v65, v6, s[8:11], 0 offen offset:256    // 00000000921C: E0701100 80024106
	buffer_store_dword v67, v6, s[8:11], 0 offen offset:384    // 000000009224: E0701180 80024306
	s_mov_b64 exec, s[36:37]                                   // 00000000922C: BEFE0124
	v_mov_b32_e32 v6, v44                                      // 000000009230: 7E0C032C
	s_mov_b64 s[60:61], 0                                      // 000000009234: BEBC0180
	v_readlane_b32 s82, v3, 8                                  // 000000009238: D2890052 00011103
	s_and_b32 s82, s82, 0xffffff                               // 000000009240: 8652FF52 00FFFFFF
	s_cmp_lt_u32 s82, s66                                      // 000000009248: BF0A4252
	s_cselect_b32 s20, s36, s60                                // 00000000924C: 85143C24
	v_readlane_b32 s82, v3, 9                                  // 000000009250: D2890052 00011303
	s_and_b32 s82, s82, 0xffffff                               // 000000009258: 8652FF52 00FFFFFF
	s_cmp_lt_u32 s82, s66                                      // 000000009260: BF0A4252
	s_cselect_b32 s21, s36, s60                                // 000000009264: 85153C24
	s_mov_b64 exec, s[20:21]                                   // 000000009268: BEFE0114
	buffer_store_dword v68, v6, s[8:11], 0 offen               // 00000000926C: E0701000 80024406
	buffer_store_dword v70, v6, s[8:11], 0 offen offset:128    // 000000009274: E0701080 80024606
	buffer_store_dword v72, v6, s[8:11], 0 offen offset:256    // 00000000927C: E0701100 80024806
	buffer_store_dword v74, v6, s[8:11], 0 offen offset:384    // 000000009284: E0701180 80024A06
	s_mov_b64 exec, s[36:37]                                   // 00000000928C: BEFE0124
	v_mov_b32_e32 v6, v45                                      // 000000009290: 7E0C032D
	s_mov_b64 s[60:61], 0                                      // 000000009294: BEBC0180
	v_readlane_b32 s82, v3, 10                                 // 000000009298: D2890052 00011503
	s_and_b32 s82, s82, 0xffffff                               // 0000000092A0: 8652FF52 00FFFFFF
	s_cmp_lt_u32 s82, s66                                      // 0000000092A8: BF0A4252
	s_cselect_b32 s20, s36, s60                                // 0000000092AC: 85143C24
	v_readlane_b32 s82, v3, 11                                 // 0000000092B0: D2890052 00011703
	s_and_b32 s82, s82, 0xffffff                               // 0000000092B8: 8652FF52 00FFFFFF
	s_cmp_lt_u32 s82, s66                                      // 0000000092C0: BF0A4252
	s_cselect_b32 s21, s36, s60                                // 0000000092C4: 85153C24
	s_mov_b64 exec, s[20:21]                                   // 0000000092C8: BEFE0114
	buffer_store_dword v69, v6, s[8:11], 0 offen               // 0000000092CC: E0701000 80024506
	buffer_store_dword v71, v6, s[8:11], 0 offen offset:128    // 0000000092D4: E0701080 80024706
	buffer_store_dword v73, v6, s[8:11], 0 offen offset:256    // 0000000092DC: E0701100 80024906
	buffer_store_dword v75, v6, s[8:11], 0 offen offset:384    // 0000000092E4: E0701180 80024B06
	s_mov_b64 exec, s[36:37]                                   // 0000000092EC: BEFE0124
	s_branch label_1E4E                                        // 0000000092F0: BF82040E

00000000000092f4 <label_1A40>:
	ds_write_b64 v20, v[52:53]                                 // 0000000092F4: D89A0000 00003414
	ds_write_b64 v20, v[56:57] offset:8704                     // 0000000092FC: D89A2200 00003814
	ds_write_b64 v20, v[60:61] offset:17408                    // 000000009304: D89A4400 00003C14
	ds_write_b64 v20, v[64:65] offset:2176                     // 00000000930C: D89A0880 00004014
	ds_write_b64 v20, v[68:69] offset:10880                    // 000000009314: D89A2A80 00004414
	ds_write_b64 v20, v[72:73] offset:19584                    // 00000000931C: D89A4C80 00004814
	ds_write_b64 v20, v[76:77] offset:4352                     // 000000009324: D89A1100 00004C14
	ds_write_b64 v20, v[80:81] offset:13056                    // 00000000932C: D89A3300 00005014
	ds_write_b64 v20, v[84:85] offset:21760                    // 000000009334: D89A5500 00005414
	ds_write_b64 v20, v[88:89] offset:6528                     // 00000000933C: D89A1980 00005814
	ds_write_b64 v20, v[92:93] offset:15232                    // 000000009344: D89A3B80 00005C14
	ds_write_b64 v20, v[96:97] offset:23936                    // 00000000934C: D89A5D80 00006014
	v_lshrrev_b32_e32 v4, 5, v0                                // 000000009354: 20080085
	v_xor_b32_e32 v5, 1, v4                                    // 000000009358: 2A0A0881
	s_mul_i32 s60, s65, 2                                      // 00000000935C: 923C8241
	s_cmp_eq_u32 s88, 0                                        // 000000009360: BF068058
	s_cselect_b32 s61, 1, 4                                    // 000000009364: 853D8481
	s_mul_i32 s60, s61, s60                                    // 000000009368: 923C3C3D
	v_readlane_b32 s82, v3, 0                                  // 00000000936C: D2890052 00010103
	s_lshr_b32 s61, s82, 24                                    // 000000009374: 8F3D9852
	s_and_b32 s82, s82, 0xffffff                               // 000000009378: 8652FF52 00FFFFFF
	s_mul_i32 s82, s82, s71                                    // 000000009380: 92524752
	s_mul_i32 s61, s60, s61                                    // 000000009384: 923D3D3C
	s_add_u32 s82, s82, s61                                    // 000000009388: 80523D52
	v_mul_lo_u32 v6, v5, s82                                   // 00000000938C: D2850006 0000A505
	v_readlane_b32 s82, v3, 1                                  // 000000009394: D2890052 00010303
	s_lshr_b32 s61, s82, 24                                    // 00000000939C: 8F3D9852
	s_and_b32 s82, s82, 0xffffff                               // 0000000093A0: 8652FF52 00FFFFFF
	s_mul_i32 s82, s82, s71                                    // 0000000093A8: 92524752
	s_mul_i32 s61, s60, s61                                    // 0000000093AC: 923D3D3C
	s_add_u32 s82, s82, s61                                    // 0000000093B0: 80523D52
	v_mul_lo_u32 v7, v4, s82                                   // 0000000093B4: D2850007 0000A504
	v_add_u32_e32 v40, v6, v7                                  // 0000000093BC: 68500F06
	v_readlane_b32 s82, v3, 2                                  // 0000000093C0: D2890052 00010503
	s_lshr_b32 s61, s82, 24                                    // 0000000093C8: 8F3D9852
	s_and_b32 s82, s82, 0xffffff                               // 0000000093CC: 8652FF52 00FFFFFF
	s_mul_i32 s82, s82, s71                                    // 0000000093D4: 92524752
	s_mul_i32 s61, s60, s61                                    // 0000000093D8: 923D3D3C
	s_add_u32 s82, s82, s61                                    // 0000000093DC: 80523D52
	v_mul_lo_u32 v6, v5, s82                                   // 0000000093E0: D2850006 0000A505
	v_readlane_b32 s82, v3, 3                                  // 0000000093E8: D2890052 00010703
	s_lshr_b32 s61, s82, 24                                    // 0000000093F0: 8F3D9852
	s_and_b32 s82, s82, 0xffffff                               // 0000000093F4: 8652FF52 00FFFFFF
	s_mul_i32 s82, s82, s71                                    // 0000000093FC: 92524752
	s_mul_i32 s61, s60, s61                                    // 000000009400: 923D3D3C
	s_add_u32 s82, s82, s61                                    // 000000009404: 80523D52
	v_mul_lo_u32 v7, v4, s82                                   // 000000009408: D2850007 0000A504
	v_add_u32_e32 v41, v6, v7                                  // 000000009410: 68520F06
	v_readlane_b32 s82, v3, 4                                  // 000000009414: D2890052 00010903
	s_lshr_b32 s61, s82, 24                                    // 00000000941C: 8F3D9852
	s_and_b32 s82, s82, 0xffffff                               // 000000009420: 8652FF52 00FFFFFF
	s_mul_i32 s82, s82, s71                                    // 000000009428: 92524752
	s_mul_i32 s61, s60, s61                                    // 00000000942C: 923D3D3C
	s_add_u32 s82, s82, s61                                    // 000000009430: 80523D52
	v_mul_lo_u32 v6, v5, s82                                   // 000000009434: D2850006 0000A505
	v_readlane_b32 s82, v3, 5                                  // 00000000943C: D2890052 00010B03
	s_lshr_b32 s61, s82, 24                                    // 000000009444: 8F3D9852
	s_and_b32 s82, s82, 0xffffff                               // 000000009448: 8652FF52 00FFFFFF
	s_mul_i32 s82, s82, s71                                    // 000000009450: 92524752
	s_mul_i32 s61, s60, s61                                    // 000000009454: 923D3D3C
	s_add_u32 s82, s82, s61                                    // 000000009458: 80523D52
	v_mul_lo_u32 v7, v4, s82                                   // 00000000945C: D2850007 0000A504
	v_add_u32_e32 v42, v6, v7                                  // 000000009464: 68540F06
	v_readlane_b32 s82, v3, 6                                  // 000000009468: D2890052 00010D03
	s_lshr_b32 s61, s82, 24                                    // 000000009470: 8F3D9852
	s_and_b32 s82, s82, 0xffffff                               // 000000009474: 8652FF52 00FFFFFF
	s_mul_i32 s82, s82, s71                                    // 00000000947C: 92524752
	s_mul_i32 s61, s60, s61                                    // 000000009480: 923D3D3C
	s_add_u32 s82, s82, s61                                    // 000000009484: 80523D52
	v_mul_lo_u32 v6, v5, s82                                   // 000000009488: D2850006 0000A505
	v_readlane_b32 s82, v3, 7                                  // 000000009490: D2890052 00010F03
	s_lshr_b32 s61, s82, 24                                    // 000000009498: 8F3D9852
	s_and_b32 s82, s82, 0xffffff                               // 00000000949C: 8652FF52 00FFFFFF
	s_mul_i32 s82, s82, s71                                    // 0000000094A4: 92524752
	s_mul_i32 s61, s60, s61                                    // 0000000094A8: 923D3D3C
	s_add_u32 s82, s82, s61                                    // 0000000094AC: 80523D52
	v_mul_lo_u32 v7, v4, s82                                   // 0000000094B0: D2850007 0000A504
	v_add_u32_e32 v43, v6, v7                                  // 0000000094B8: 68560F06
	v_readlane_b32 s82, v3, 8                                  // 0000000094BC: D2890052 00011103
	s_lshr_b32 s61, s82, 24                                    // 0000000094C4: 8F3D9852
	s_and_b32 s82, s82, 0xffffff                               // 0000000094C8: 8652FF52 00FFFFFF
	s_mul_i32 s82, s82, s71                                    // 0000000094D0: 92524752
	s_mul_i32 s61, s60, s61                                    // 0000000094D4: 923D3D3C
	s_add_u32 s82, s82, s61                                    // 0000000094D8: 80523D52
	v_mul_lo_u32 v6, v5, s82                                   // 0000000094DC: D2850006 0000A505
	v_readlane_b32 s82, v3, 9                                  // 0000000094E4: D2890052 00011303
	s_lshr_b32 s61, s82, 24                                    // 0000000094EC: 8F3D9852
	s_and_b32 s82, s82, 0xffffff                               // 0000000094F0: 8652FF52 00FFFFFF
	s_mul_i32 s82, s82, s71                                    // 0000000094F8: 92524752
	s_mul_i32 s61, s60, s61                                    // 0000000094FC: 923D3D3C
	s_add_u32 s82, s82, s61                                    // 000000009500: 80523D52
	v_mul_lo_u32 v7, v4, s82                                   // 000000009504: D2850007 0000A504
	v_add_u32_e32 v44, v6, v7                                  // 00000000950C: 68580F06
	v_readlane_b32 s82, v3, 10                                 // 000000009510: D2890052 00011503
	s_lshr_b32 s61, s82, 24                                    // 000000009518: 8F3D9852
	s_and_b32 s82, s82, 0xffffff                               // 00000000951C: 8652FF52 00FFFFFF
	s_mul_i32 s82, s82, s71                                    // 000000009524: 92524752
	s_mul_i32 s61, s60, s61                                    // 000000009528: 923D3D3C
	s_add_u32 s82, s82, s61                                    // 00000000952C: 80523D52
	v_mul_lo_u32 v6, v5, s82                                   // 000000009530: D2850006 0000A505
	v_readlane_b32 s82, v3, 11                                 // 000000009538: D2890052 00011703
	s_lshr_b32 s61, s82, 24                                    // 000000009540: 8F3D9852
	s_and_b32 s82, s82, 0xffffff                               // 000000009544: 8652FF52 00FFFFFF
	s_mul_i32 s82, s82, s71                                    // 00000000954C: 92524752
	s_mul_i32 s61, s60, s61                                    // 000000009550: 923D3D3C
	s_add_u32 s82, s82, s61                                    // 000000009554: 80523D52
	v_mul_lo_u32 v7, v4, s82                                   // 000000009558: D2850007 0000A504
	v_add_u32_e32 v45, v6, v7                                  // 000000009560: 685A0F06
	v_and_b32_e32 v4, 31, v0                                   // 000000009564: 2608009F
	v_lshrrev_b32_e32 v4, 1, v4                                // 000000009568: 20080881
	s_cmp_eq_u32 s88, 0                                        // 00000000956C: BF068058
	s_cselect_b32 s61, 2, 4                                    // 000000009570: 853D8482
	v_mul_lo_u32 v4, v4, s61                                   // 000000009574: D2850004 00007B04
	v_and_b32_e64 v5, v0, 1                                    // 00000000957C: D1130005 00010300
	v_add_u32_e32 v4, v4, v5                                   // 000000009584: 68080B04
	v_lshlrev_b32_e32 v4, 2, v4                                // 000000009588: 24080882
	v_add_u32_e32 v40, v40, v4                                 // 00000000958C: 68500928
	v_add_u32_e32 v41, v41, v4                                 // 000000009590: 68520929
	v_add_u32_e32 v42, v42, v4                                 // 000000009594: 6854092A
	v_add_u32_e32 v43, v43, v4                                 // 000000009598: 6856092B
	v_add_u32_e32 v44, v44, v4                                 // 00000000959C: 6858092C
	v_add_u32_e32 v45, v45, v4                                 // 0000000095A0: 685A092D
	s_waitcnt lgkmcnt(0)                                       // 0000000095A4: BF8CC07F
	s_barrier                                                  // 0000000095A8: BF8A0000
	ds_read_b32 v52, v21                                       // 0000000095AC: D86C0000 34000015
	ds_read_b32 v53, v21 offset:64                             // 0000000095B4: D86C0040 35000015
	ds_read_b32 v56, v21 offset:2176                           // 0000000095BC: D86C0880 38000015
	ds_read_b32 v57, v21 offset:2240                           // 0000000095C4: D86C08C0 39000015
	ds_read_b32 v60, v21 offset:4352                           // 0000000095CC: D86C1100 3C000015
	ds_read_b32 v61, v21 offset:4416                           // 0000000095D4: D86C1140 3D000015
	ds_read_b32 v64, v21 offset:6528                           // 0000000095DC: D86C1980 40000015
	ds_read_b32 v65, v21 offset:6592                           // 0000000095E4: D86C19C0 41000015
	ds_read_b32 v68, v21 offset:8704                           // 0000000095EC: D86C2200 44000015
	ds_read_b32 v69, v21 offset:8768                           // 0000000095F4: D86C2240 45000015
	ds_read_b32 v72, v21 offset:10880                          // 0000000095FC: D86C2A80 48000015
	ds_read_b32 v73, v21 offset:10944                          // 000000009604: D86C2AC0 49000015
	ds_read_b32 v76, v21 offset:13056                          // 00000000960C: D86C3300 4C000015
	ds_read_b32 v77, v21 offset:13120                          // 000000009614: D86C3340 4D000015
	ds_read_b32 v80, v21 offset:15232                          // 00000000961C: D86C3B80 50000015
	ds_read_b32 v81, v21 offset:15296                          // 000000009624: D86C3BC0 51000015
	ds_read_b32 v84, v21 offset:17408                          // 00000000962C: D86C4400 54000015
	ds_read_b32 v85, v21 offset:17472                          // 000000009634: D86C4440 55000015
	ds_read_b32 v88, v21 offset:19584                          // 00000000963C: D86C4C80 58000015
	ds_read_b32 v89, v21 offset:19648                          // 000000009644: D86C4CC0 59000015
	ds_read_b32 v92, v21 offset:21760                          // 00000000964C: D86C5500 5C000015
	ds_read_b32 v93, v21 offset:21824                          // 000000009654: D86C5540 5D000015
	ds_read_b32 v96, v21 offset:23936                          // 00000000965C: D86C5D80 60000015
	ds_read_b32 v97, v21 offset:24000                          // 000000009664: D86C5DC0 61000015
	s_waitcnt lgkmcnt(0)                                       // 00000000966C: BF8CC07F
	s_mov_b32 s36, -1                                          // 000000009670: BEA400C1
	s_mov_b32 s37, -1                                          // 000000009674: BEA500C1
	v_mov_b32_e32 v7, 0                                        // 000000009678: 7E0E0280
	s_mov_b64 exec, s[36:37]                                   // 00000000967C: BEFE0124
	v_mov_b32_e32 v6, v40                                      // 000000009680: 7E0C0328
	s_mov_b64 s[60:61], 0                                      // 000000009684: BEBC0180
	v_readlane_b32 s82, v3, 0                                  // 000000009688: D2890052 00010103
	s_and_b32 s82, s82, 0xffffff                               // 000000009690: 8652FF52 00FFFFFF
	s_cmp_lt_u32 s82, s66                                      // 000000009698: BF0A4252
	s_cselect_b32 s20, s36, s60                                // 00000000969C: 85143C24
	v_readlane_b32 s82, v3, 1                                  // 0000000096A0: D2890052 00010303
	s_and_b32 s82, s82, 0xffffff                               // 0000000096A8: 8652FF52 00FFFFFF
	s_cmp_lt_u32 s82, s66                                      // 0000000096B0: BF0A4252
	s_cselect_b32 s21, s36, s60                                // 0000000096B4: 85153C24
	s_mov_b64 exec, s[20:21]                                   // 0000000096B8: BEFE0114
	global_atomic_add_f32 v6, v52, s[8:9]                      // 0000000096BC: DD348000 00083406
	global_atomic_add_f32 v6, v56, s[8:9] offset:256           // 0000000096C4: DD348100 00083806
	global_atomic_add_f32 v6, v60, s[8:9] offset:512           // 0000000096CC: DD348200 00083C06
	global_atomic_add_f32 v6, v64, s[8:9] offset:768           // 0000000096D4: DD348300 00084006
	s_mov_b64 exec, s[36:37]                                   // 0000000096DC: BEFE0124
	v_mov_b32_e32 v6, v41                                      // 0000000096E0: 7E0C0329
	s_mov_b64 s[60:61], 0                                      // 0000000096E4: BEBC0180
	v_readlane_b32 s82, v3, 2                                  // 0000000096E8: D2890052 00010503
	s_and_b32 s82, s82, 0xffffff                               // 0000000096F0: 8652FF52 00FFFFFF
	s_cmp_lt_u32 s82, s66                                      // 0000000096F8: BF0A4252
	s_cselect_b32 s20, s36, s60                                // 0000000096FC: 85143C24
	v_readlane_b32 s82, v3, 3                                  // 000000009700: D2890052 00010703
	s_and_b32 s82, s82, 0xffffff                               // 000000009708: 8652FF52 00FFFFFF
	s_cmp_lt_u32 s82, s66                                      // 000000009710: BF0A4252
	s_cselect_b32 s21, s36, s60                                // 000000009714: 85153C24
	s_mov_b64 exec, s[20:21]                                   // 000000009718: BEFE0114
	global_atomic_add_f32 v6, v53, s[8:9]                      // 00000000971C: DD348000 00083506
	global_atomic_add_f32 v6, v57, s[8:9] offset:256           // 000000009724: DD348100 00083906
	global_atomic_add_f32 v6, v61, s[8:9] offset:512           // 00000000972C: DD348200 00083D06
	global_atomic_add_f32 v6, v65, s[8:9] offset:768           // 000000009734: DD348300 00084106
	s_mov_b64 exec, s[36:37]                                   // 00000000973C: BEFE0124
	v_mov_b32_e32 v6, v42                                      // 000000009740: 7E0C032A
	s_mov_b64 s[60:61], 0                                      // 000000009744: BEBC0180
	v_readlane_b32 s82, v3, 4                                  // 000000009748: D2890052 00010903
	s_and_b32 s82, s82, 0xffffff                               // 000000009750: 8652FF52 00FFFFFF
	s_cmp_lt_u32 s82, s66                                      // 000000009758: BF0A4252
	s_cselect_b32 s20, s36, s60                                // 00000000975C: 85143C24
	v_readlane_b32 s82, v3, 5                                  // 000000009760: D2890052 00010B03
	s_and_b32 s82, s82, 0xffffff                               // 000000009768: 8652FF52 00FFFFFF
	s_cmp_lt_u32 s82, s66                                      // 000000009770: BF0A4252
	s_cselect_b32 s21, s36, s60                                // 000000009774: 85153C24
	s_mov_b64 exec, s[20:21]                                   // 000000009778: BEFE0114
	global_atomic_add_f32 v6, v68, s[8:9]                      // 00000000977C: DD348000 00084406
	global_atomic_add_f32 v6, v72, s[8:9] offset:256           // 000000009784: DD348100 00084806
	global_atomic_add_f32 v6, v76, s[8:9] offset:512           // 00000000978C: DD348200 00084C06
	global_atomic_add_f32 v6, v80, s[8:9] offset:768           // 000000009794: DD348300 00085006
	s_mov_b64 exec, s[36:37]                                   // 00000000979C: BEFE0124
	v_mov_b32_e32 v6, v43                                      // 0000000097A0: 7E0C032B
	s_mov_b64 s[60:61], 0                                      // 0000000097A4: BEBC0180
	v_readlane_b32 s82, v3, 6                                  // 0000000097A8: D2890052 00010D03
	s_and_b32 s82, s82, 0xffffff                               // 0000000097B0: 8652FF52 00FFFFFF
	s_cmp_lt_u32 s82, s66                                      // 0000000097B8: BF0A4252
	s_cselect_b32 s20, s36, s60                                // 0000000097BC: 85143C24
	v_readlane_b32 s82, v3, 7                                  // 0000000097C0: D2890052 00010F03
	s_and_b32 s82, s82, 0xffffff                               // 0000000097C8: 8652FF52 00FFFFFF
	s_cmp_lt_u32 s82, s66                                      // 0000000097D0: BF0A4252
	s_cselect_b32 s21, s36, s60                                // 0000000097D4: 85153C24
	s_mov_b64 exec, s[20:21]                                   // 0000000097D8: BEFE0114
	global_atomic_add_f32 v6, v69, s[8:9]                      // 0000000097DC: DD348000 00084506
	global_atomic_add_f32 v6, v73, s[8:9] offset:256           // 0000000097E4: DD348100 00084906
	global_atomic_add_f32 v6, v77, s[8:9] offset:512           // 0000000097EC: DD348200 00084D06
	global_atomic_add_f32 v6, v81, s[8:9] offset:768           // 0000000097F4: DD348300 00085106
	s_mov_b64 exec, s[36:37]                                   // 0000000097FC: BEFE0124
	v_mov_b32_e32 v6, v44                                      // 000000009800: 7E0C032C
	s_mov_b64 s[60:61], 0                                      // 000000009804: BEBC0180
	v_readlane_b32 s82, v3, 8                                  // 000000009808: D2890052 00011103
	s_and_b32 s82, s82, 0xffffff                               // 000000009810: 8652FF52 00FFFFFF
	s_cmp_lt_u32 s82, s66                                      // 000000009818: BF0A4252
	s_cselect_b32 s20, s36, s60                                // 00000000981C: 85143C24
	v_readlane_b32 s82, v3, 9                                  // 000000009820: D2890052 00011303
	s_and_b32 s82, s82, 0xffffff                               // 000000009828: 8652FF52 00FFFFFF
	s_cmp_lt_u32 s82, s66                                      // 000000009830: BF0A4252
	s_cselect_b32 s21, s36, s60                                // 000000009834: 85153C24
	s_mov_b64 exec, s[20:21]                                   // 000000009838: BEFE0114
	global_atomic_add_f32 v6, v84, s[8:9]                      // 00000000983C: DD348000 00085406
	global_atomic_add_f32 v6, v88, s[8:9] offset:256           // 000000009844: DD348100 00085806
	global_atomic_add_f32 v6, v92, s[8:9] offset:512           // 00000000984C: DD348200 00085C06
	global_atomic_add_f32 v6, v96, s[8:9] offset:768           // 000000009854: DD348300 00086006
	s_mov_b64 exec, s[36:37]                                   // 00000000985C: BEFE0124
	v_mov_b32_e32 v6, v45                                      // 000000009860: 7E0C032D
	s_mov_b64 s[60:61], 0                                      // 000000009864: BEBC0180
	v_readlane_b32 s82, v3, 10                                 // 000000009868: D2890052 00011503
	s_and_b32 s82, s82, 0xffffff                               // 000000009870: 8652FF52 00FFFFFF
	s_cmp_lt_u32 s82, s66                                      // 000000009878: BF0A4252
	s_cselect_b32 s20, s36, s60                                // 00000000987C: 85143C24
	v_readlane_b32 s82, v3, 11                                 // 000000009880: D2890052 00011703
	s_and_b32 s82, s82, 0xffffff                               // 000000009888: 8652FF52 00FFFFFF
	s_cmp_lt_u32 s82, s66                                      // 000000009890: BF0A4252
	s_cselect_b32 s21, s36, s60                                // 000000009894: 85153C24
	s_mov_b64 exec, s[20:21]                                   // 000000009898: BEFE0114
	global_atomic_add_f32 v6, v85, s[8:9]                      // 00000000989C: DD348000 00085506
	global_atomic_add_f32 v6, v89, s[8:9] offset:256           // 0000000098A4: DD348100 00085906
	global_atomic_add_f32 v6, v93, s[8:9] offset:512           // 0000000098AC: DD348200 00085D06
	global_atomic_add_f32 v6, v97, s[8:9] offset:768           // 0000000098B4: DD348300 00086106
	s_mov_b64 exec, s[36:37]                                   // 0000000098BC: BEFE0124
	ds_write_b64 v20, v[54:55]                                 // 0000000098C0: D89A0000 00003614
	ds_write_b64 v20, v[58:59] offset:8704                     // 0000000098C8: D89A2200 00003A14
	ds_write_b64 v20, v[62:63] offset:17408                    // 0000000098D0: D89A4400 00003E14
	ds_write_b64 v20, v[66:67] offset:2176                     // 0000000098D8: D89A0880 00004214
	ds_write_b64 v20, v[70:71] offset:10880                    // 0000000098E0: D89A2A80 00004614
	ds_write_b64 v20, v[74:75] offset:19584                    // 0000000098E8: D89A4C80 00004A14
	ds_write_b64 v20, v[78:79] offset:4352                     // 0000000098F0: D89A1100 00004E14
	ds_write_b64 v20, v[82:83] offset:13056                    // 0000000098F8: D89A3300 00005214
	ds_write_b64 v20, v[86:87] offset:21760                    // 000000009900: D89A5500 00005614
	ds_write_b64 v20, v[90:91] offset:6528                     // 000000009908: D89A1980 00005A14
	ds_write_b64 v20, v[94:95] offset:15232                    // 000000009910: D89A3B80 00005E14
	ds_write_b64 v20, v[98:99] offset:23936                    // 000000009918: D89A5D80 00006214
	s_waitcnt lgkmcnt(0)                                       // 000000009920: BF8CC07F
	s_barrier                                                  // 000000009924: BF8A0000
	ds_read_b32 v54, v21                                       // 000000009928: D86C0000 36000015
	ds_read_b32 v55, v21 offset:64                             // 000000009930: D86C0040 37000015
	ds_read_b32 v58, v21 offset:2176                           // 000000009938: D86C0880 3A000015
	ds_read_b32 v59, v21 offset:2240                           // 000000009940: D86C08C0 3B000015
	ds_read_b32 v62, v21 offset:4352                           // 000000009948: D86C1100 3E000015
	ds_read_b32 v63, v21 offset:4416                           // 000000009950: D86C1140 3F000015
	ds_read_b32 v66, v21 offset:6528                           // 000000009958: D86C1980 42000015
	ds_read_b32 v67, v21 offset:6592                           // 000000009960: D86C19C0 43000015
	ds_read_b32 v70, v21 offset:8704                           // 000000009968: D86C2200 46000015
	ds_read_b32 v71, v21 offset:8768                           // 000000009970: D86C2240 47000015
	ds_read_b32 v74, v21 offset:10880                          // 000000009978: D86C2A80 4A000015
	ds_read_b32 v75, v21 offset:10944                          // 000000009980: D86C2AC0 4B000015
	ds_read_b32 v78, v21 offset:13056                          // 000000009988: D86C3300 4E000015
	ds_read_b32 v79, v21 offset:13120                          // 000000009990: D86C3340 4F000015
	ds_read_b32 v82, v21 offset:15232                          // 000000009998: D86C3B80 52000015
	ds_read_b32 v83, v21 offset:15296                          // 0000000099A0: D86C3BC0 53000015
	ds_read_b32 v86, v21 offset:17408                          // 0000000099A8: D86C4400 56000015
	ds_read_b32 v87, v21 offset:17472                          // 0000000099B0: D86C4440 57000015
	ds_read_b32 v90, v21 offset:19584                          // 0000000099B8: D86C4C80 5A000015
	ds_read_b32 v91, v21 offset:19648                          // 0000000099C0: D86C4CC0 5B000015
	ds_read_b32 v94, v21 offset:21760                          // 0000000099C8: D86C5500 5E000015
	ds_read_b32 v95, v21 offset:21824                          // 0000000099D0: D86C5540 5F000015
	ds_read_b32 v98, v21 offset:23936                          // 0000000099D8: D86C5D80 62000015
	ds_read_b32 v99, v21 offset:24000                          // 0000000099E0: D86C5DC0 63000015
	s_waitcnt lgkmcnt(0)                                       // 0000000099E8: BF8CC07F
	v_mov_b32_e32 v7, 0                                        // 0000000099EC: 7E0E0280
	s_mov_b64 exec, s[36:37]                                   // 0000000099F0: BEFE0124
	v_mov_b32_e32 v6, v40                                      // 0000000099F4: 7E0C0328
	s_mov_b64 s[60:61], 0                                      // 0000000099F8: BEBC0180
	v_readlane_b32 s82, v3, 0                                  // 0000000099FC: D2890052 00010103
	s_and_b32 s82, s82, 0xffffff                               // 000000009A04: 8652FF52 00FFFFFF
	s_cmp_lt_u32 s82, s66                                      // 000000009A0C: BF0A4252
	s_cselect_b32 s20, s36, s60                                // 000000009A10: 85143C24
	v_readlane_b32 s82, v3, 1                                  // 000000009A14: D2890052 00010303
	s_and_b32 s82, s82, 0xffffff                               // 000000009A1C: 8652FF52 00FFFFFF
	s_cmp_lt_u32 s82, s66                                      // 000000009A24: BF0A4252
	s_cselect_b32 s21, s36, s60                                // 000000009A28: 85153C24
	s_mov_b64 exec, s[20:21]                                   // 000000009A2C: BEFE0114
	global_atomic_add_f32 v6, v54, s[8:9] offset:8             // 000000009A30: DD348008 00083606
	global_atomic_add_f32 v6, v58, s[8:9] offset:264           // 000000009A38: DD348108 00083A06
	global_atomic_add_f32 v6, v62, s[8:9] offset:520           // 000000009A40: DD348208 00083E06
	global_atomic_add_f32 v6, v66, s[8:9] offset:776           // 000000009A48: DD348308 00084206
	s_mov_b64 exec, s[36:37]                                   // 000000009A50: BEFE0124
	v_mov_b32_e32 v6, v41                                      // 000000009A54: 7E0C0329
	s_mov_b64 s[60:61], 0                                      // 000000009A58: BEBC0180
	v_readlane_b32 s82, v3, 2                                  // 000000009A5C: D2890052 00010503
	s_and_b32 s82, s82, 0xffffff                               // 000000009A64: 8652FF52 00FFFFFF
	s_cmp_lt_u32 s82, s66                                      // 000000009A6C: BF0A4252
	s_cselect_b32 s20, s36, s60                                // 000000009A70: 85143C24
	v_readlane_b32 s82, v3, 3                                  // 000000009A74: D2890052 00010703
	s_and_b32 s82, s82, 0xffffff                               // 000000009A7C: 8652FF52 00FFFFFF
	s_cmp_lt_u32 s82, s66                                      // 000000009A84: BF0A4252
	s_cselect_b32 s21, s36, s60                                // 000000009A88: 85153C24
	s_mov_b64 exec, s[20:21]                                   // 000000009A8C: BEFE0114
	global_atomic_add_f32 v6, v55, s[8:9] offset:8             // 000000009A90: DD348008 00083706
	global_atomic_add_f32 v6, v59, s[8:9] offset:264           // 000000009A98: DD348108 00083B06
	global_atomic_add_f32 v6, v63, s[8:9] offset:520           // 000000009AA0: DD348208 00083F06
	global_atomic_add_f32 v6, v67, s[8:9] offset:776           // 000000009AA8: DD348308 00084306
	s_mov_b64 exec, s[36:37]                                   // 000000009AB0: BEFE0124
	v_mov_b32_e32 v6, v42                                      // 000000009AB4: 7E0C032A
	s_mov_b64 s[60:61], 0                                      // 000000009AB8: BEBC0180
	v_readlane_b32 s82, v3, 4                                  // 000000009ABC: D2890052 00010903
	s_and_b32 s82, s82, 0xffffff                               // 000000009AC4: 8652FF52 00FFFFFF
	s_cmp_lt_u32 s82, s66                                      // 000000009ACC: BF0A4252
	s_cselect_b32 s20, s36, s60                                // 000000009AD0: 85143C24
	v_readlane_b32 s82, v3, 5                                  // 000000009AD4: D2890052 00010B03
	s_and_b32 s82, s82, 0xffffff                               // 000000009ADC: 8652FF52 00FFFFFF
	s_cmp_lt_u32 s82, s66                                      // 000000009AE4: BF0A4252
	s_cselect_b32 s21, s36, s60                                // 000000009AE8: 85153C24
	s_mov_b64 exec, s[20:21]                                   // 000000009AEC: BEFE0114
	global_atomic_add_f32 v6, v70, s[8:9] offset:8             // 000000009AF0: DD348008 00084606
	global_atomic_add_f32 v6, v74, s[8:9] offset:264           // 000000009AF8: DD348108 00084A06
	global_atomic_add_f32 v6, v78, s[8:9] offset:520           // 000000009B00: DD348208 00084E06
	global_atomic_add_f32 v6, v82, s[8:9] offset:776           // 000000009B08: DD348308 00085206
	s_mov_b64 exec, s[36:37]                                   // 000000009B10: BEFE0124
	v_mov_b32_e32 v6, v43                                      // 000000009B14: 7E0C032B
	s_mov_b64 s[60:61], 0                                      // 000000009B18: BEBC0180
	v_readlane_b32 s82, v3, 6                                  // 000000009B1C: D2890052 00010D03
	s_and_b32 s82, s82, 0xffffff                               // 000000009B24: 8652FF52 00FFFFFF
	s_cmp_lt_u32 s82, s66                                      // 000000009B2C: BF0A4252
	s_cselect_b32 s20, s36, s60                                // 000000009B30: 85143C24
	v_readlane_b32 s82, v3, 7                                  // 000000009B34: D2890052 00010F03
	s_and_b32 s82, s82, 0xffffff                               // 000000009B3C: 8652FF52 00FFFFFF
	s_cmp_lt_u32 s82, s66                                      // 000000009B44: BF0A4252
	s_cselect_b32 s21, s36, s60                                // 000000009B48: 85153C24
	s_mov_b64 exec, s[20:21]                                   // 000000009B4C: BEFE0114
	global_atomic_add_f32 v6, v71, s[8:9] offset:8             // 000000009B50: DD348008 00084706
	global_atomic_add_f32 v6, v75, s[8:9] offset:264           // 000000009B58: DD348108 00084B06
	global_atomic_add_f32 v6, v79, s[8:9] offset:520           // 000000009B60: DD348208 00084F06
	global_atomic_add_f32 v6, v83, s[8:9] offset:776           // 000000009B68: DD348308 00085306
	s_mov_b64 exec, s[36:37]                                   // 000000009B70: BEFE0124
	v_mov_b32_e32 v6, v44                                      // 000000009B74: 7E0C032C
	s_mov_b64 s[60:61], 0                                      // 000000009B78: BEBC0180
	v_readlane_b32 s82, v3, 8                                  // 000000009B7C: D2890052 00011103
	s_and_b32 s82, s82, 0xffffff                               // 000000009B84: 8652FF52 00FFFFFF
	s_cmp_lt_u32 s82, s66                                      // 000000009B8C: BF0A4252
	s_cselect_b32 s20, s36, s60                                // 000000009B90: 85143C24
	v_readlane_b32 s82, v3, 9                                  // 000000009B94: D2890052 00011303
	s_and_b32 s82, s82, 0xffffff                               // 000000009B9C: 8652FF52 00FFFFFF
	s_cmp_lt_u32 s82, s66                                      // 000000009BA4: BF0A4252
	s_cselect_b32 s21, s36, s60                                // 000000009BA8: 85153C24
	s_mov_b64 exec, s[20:21]                                   // 000000009BAC: BEFE0114
	global_atomic_add_f32 v6, v86, s[8:9] offset:8             // 000000009BB0: DD348008 00085606
	global_atomic_add_f32 v6, v90, s[8:9] offset:264           // 000000009BB8: DD348108 00085A06
	global_atomic_add_f32 v6, v94, s[8:9] offset:520           // 000000009BC0: DD348208 00085E06
	global_atomic_add_f32 v6, v98, s[8:9] offset:776           // 000000009BC8: DD348308 00086206
	s_mov_b64 exec, s[36:37]                                   // 000000009BD0: BEFE0124
	v_mov_b32_e32 v6, v45                                      // 000000009BD4: 7E0C032D
	s_mov_b64 s[60:61], 0                                      // 000000009BD8: BEBC0180
	v_readlane_b32 s82, v3, 10                                 // 000000009BDC: D2890052 00011503
	s_and_b32 s82, s82, 0xffffff                               // 000000009BE4: 8652FF52 00FFFFFF
	s_cmp_lt_u32 s82, s66                                      // 000000009BEC: BF0A4252
	s_cselect_b32 s20, s36, s60                                // 000000009BF0: 85143C24
	v_readlane_b32 s82, v3, 11                                 // 000000009BF4: D2890052 00011703
	s_and_b32 s82, s82, 0xffffff                               // 000000009BFC: 8652FF52 00FFFFFF
	s_cmp_lt_u32 s82, s66                                      // 000000009C04: BF0A4252
	s_cselect_b32 s21, s36, s60                                // 000000009C08: 85153C24
	s_mov_b64 exec, s[20:21]                                   // 000000009C0C: BEFE0114
	global_atomic_add_f32 v6, v87, s[8:9] offset:8             // 000000009C10: DD348008 00085706
	global_atomic_add_f32 v6, v91, s[8:9] offset:264           // 000000009C18: DD348108 00085B06
	global_atomic_add_f32 v6, v95, s[8:9] offset:520           // 000000009C20: DD348208 00085F06
	global_atomic_add_f32 v6, v99, s[8:9] offset:776           // 000000009C28: DD348308 00086306
	s_mov_b64 exec, s[36:37]                                   // 000000009C30: BEFE0124
	ds_write_b64 v20, v[100:101]                               // 000000009C34: D89A0000 00006414
	ds_write_b64 v20, v[104:105] offset:8704                   // 000000009C3C: D89A2200 00006814
	ds_write_b64 v20, v[108:109] offset:17408                  // 000000009C44: D89A4400 00006C14
	ds_write_b64 v20, v[112:113] offset:2176                   // 000000009C4C: D89A0880 00007014
	ds_write_b64 v20, v[116:117] offset:10880                  // 000000009C54: D89A2A80 00007414
	ds_write_b64 v20, v[120:121] offset:19584                  // 000000009C5C: D89A4C80 00007814
	ds_write_b64 v20, v[124:125] offset:4352                   // 000000009C64: D89A1100 00007C14
	ds_write_b64 v20, v[128:129] offset:13056                  // 000000009C6C: D89A3300 00008014
	ds_write_b64 v20, v[132:133] offset:21760                  // 000000009C74: D89A5500 00008414
	ds_write_b64 v20, v[136:137] offset:6528                   // 000000009C7C: D89A1980 00008814
	ds_write_b64 v20, v[140:141] offset:15232                  // 000000009C84: D89A3B80 00008C14
	ds_write_b64 v20, v[144:145] offset:23936                  // 000000009C8C: D89A5D80 00009014
	s_waitcnt lgkmcnt(0)                                       // 000000009C94: BF8CC07F
	s_barrier                                                  // 000000009C98: BF8A0000
	ds_read_b32 v100, v21                                      // 000000009C9C: D86C0000 64000015
	ds_read_b32 v101, v21 offset:64                            // 000000009CA4: D86C0040 65000015
	ds_read_b32 v104, v21 offset:2176                          // 000000009CAC: D86C0880 68000015
	ds_read_b32 v105, v21 offset:2240                          // 000000009CB4: D86C08C0 69000015
	ds_read_b32 v108, v21 offset:4352                          // 000000009CBC: D86C1100 6C000015
	ds_read_b32 v109, v21 offset:4416                          // 000000009CC4: D86C1140 6D000015
	ds_read_b32 v112, v21 offset:6528                          // 000000009CCC: D86C1980 70000015
	ds_read_b32 v113, v21 offset:6592                          // 000000009CD4: D86C19C0 71000015
	ds_read_b32 v116, v21 offset:8704                          // 000000009CDC: D86C2200 74000015
	ds_read_b32 v117, v21 offset:8768                          // 000000009CE4: D86C2240 75000015
	ds_read_b32 v120, v21 offset:10880                         // 000000009CEC: D86C2A80 78000015
	ds_read_b32 v121, v21 offset:10944                         // 000000009CF4: D86C2AC0 79000015
	ds_read_b32 v124, v21 offset:13056                         // 000000009CFC: D86C3300 7C000015
	ds_read_b32 v125, v21 offset:13120                         // 000000009D04: D86C3340 7D000015
	ds_read_b32 v128, v21 offset:15232                         // 000000009D0C: D86C3B80 80000015
	ds_read_b32 v129, v21 offset:15296                         // 000000009D14: D86C3BC0 81000015
	ds_read_b32 v132, v21 offset:17408                         // 000000009D1C: D86C4400 84000015
	ds_read_b32 v133, v21 offset:17472                         // 000000009D24: D86C4440 85000015
	ds_read_b32 v136, v21 offset:19584                         // 000000009D2C: D86C4C80 88000015
	ds_read_b32 v137, v21 offset:19648                         // 000000009D34: D86C4CC0 89000015
	ds_read_b32 v140, v21 offset:21760                         // 000000009D3C: D86C5500 8C000015
	ds_read_b32 v141, v21 offset:21824                         // 000000009D44: D86C5540 8D000015
	ds_read_b32 v144, v21 offset:23936                         // 000000009D4C: D86C5D80 90000015
	ds_read_b32 v145, v21 offset:24000                         // 000000009D54: D86C5DC0 91000015
	s_mul_i32 s60, s65, 4                                      // 000000009D5C: 923C8441
	s_add_u32 s8, s60, s8                                      // 000000009D60: 8008083C
	s_addc_u32 s9, 0, s9                                       // 000000009D64: 82090980
	s_waitcnt lgkmcnt(0)                                       // 000000009D68: BF8CC07F
	v_mov_b32_e32 v7, 0                                        // 000000009D6C: 7E0E0280
	s_mov_b64 exec, s[36:37]                                   // 000000009D70: BEFE0124
	v_mov_b32_e32 v6, v40                                      // 000000009D74: 7E0C0328
	s_mov_b64 s[60:61], 0                                      // 000000009D78: BEBC0180
	v_readlane_b32 s82, v3, 0                                  // 000000009D7C: D2890052 00010103
	s_and_b32 s82, s82, 0xffffff                               // 000000009D84: 8652FF52 00FFFFFF
	s_cmp_lt_u32 s82, s66                                      // 000000009D8C: BF0A4252
	s_cselect_b32 s20, s36, s60                                // 000000009D90: 85143C24
	v_readlane_b32 s82, v3, 1                                  // 000000009D94: D2890052 00010303
	s_and_b32 s82, s82, 0xffffff                               // 000000009D9C: 8652FF52 00FFFFFF
	s_cmp_lt_u32 s82, s66                                      // 000000009DA4: BF0A4252
	s_cselect_b32 s21, s36, s60                                // 000000009DA8: 85153C24
	s_mov_b64 exec, s[20:21]                                   // 000000009DAC: BEFE0114
	global_atomic_add_f32 v6, v100, s[8:9]                     // 000000009DB0: DD348000 00086406
	global_atomic_add_f32 v6, v104, s[8:9] offset:256          // 000000009DB8: DD348100 00086806
	global_atomic_add_f32 v6, v108, s[8:9] offset:512          // 000000009DC0: DD348200 00086C06
	global_atomic_add_f32 v6, v112, s[8:9] offset:768          // 000000009DC8: DD348300 00087006
	s_mov_b64 exec, s[36:37]                                   // 000000009DD0: BEFE0124
	v_mov_b32_e32 v6, v41                                      // 000000009DD4: 7E0C0329
	s_mov_b64 s[60:61], 0                                      // 000000009DD8: BEBC0180
	v_readlane_b32 s82, v3, 2                                  // 000000009DDC: D2890052 00010503
	s_and_b32 s82, s82, 0xffffff                               // 000000009DE4: 8652FF52 00FFFFFF
	s_cmp_lt_u32 s82, s66                                      // 000000009DEC: BF0A4252
	s_cselect_b32 s20, s36, s60                                // 000000009DF0: 85143C24
	v_readlane_b32 s82, v3, 3                                  // 000000009DF4: D2890052 00010703
	s_and_b32 s82, s82, 0xffffff                               // 000000009DFC: 8652FF52 00FFFFFF
	s_cmp_lt_u32 s82, s66                                      // 000000009E04: BF0A4252
	s_cselect_b32 s21, s36, s60                                // 000000009E08: 85153C24
	s_mov_b64 exec, s[20:21]                                   // 000000009E0C: BEFE0114
	global_atomic_add_f32 v6, v101, s[8:9]                     // 000000009E10: DD348000 00086506
	global_atomic_add_f32 v6, v105, s[8:9] offset:256          // 000000009E18: DD348100 00086906
	global_atomic_add_f32 v6, v109, s[8:9] offset:512          // 000000009E20: DD348200 00086D06
	global_atomic_add_f32 v6, v113, s[8:9] offset:768          // 000000009E28: DD348300 00087106
	s_mov_b64 exec, s[36:37]                                   // 000000009E30: BEFE0124
	v_mov_b32_e32 v6, v42                                      // 000000009E34: 7E0C032A
	s_mov_b64 s[60:61], 0                                      // 000000009E38: BEBC0180
	v_readlane_b32 s82, v3, 4                                  // 000000009E3C: D2890052 00010903
	s_and_b32 s82, s82, 0xffffff                               // 000000009E44: 8652FF52 00FFFFFF
	s_cmp_lt_u32 s82, s66                                      // 000000009E4C: BF0A4252
	s_cselect_b32 s20, s36, s60                                // 000000009E50: 85143C24
	v_readlane_b32 s82, v3, 5                                  // 000000009E54: D2890052 00010B03
	s_and_b32 s82, s82, 0xffffff                               // 000000009E5C: 8652FF52 00FFFFFF
	s_cmp_lt_u32 s82, s66                                      // 000000009E64: BF0A4252
	s_cselect_b32 s21, s36, s60                                // 000000009E68: 85153C24
	s_mov_b64 exec, s[20:21]                                   // 000000009E6C: BEFE0114
	global_atomic_add_f32 v6, v116, s[8:9]                     // 000000009E70: DD348000 00087406
	global_atomic_add_f32 v6, v120, s[8:9] offset:256          // 000000009E78: DD348100 00087806
	global_atomic_add_f32 v6, v124, s[8:9] offset:512          // 000000009E80: DD348200 00087C06
	global_atomic_add_f32 v6, v128, s[8:9] offset:768          // 000000009E88: DD348300 00088006
	s_mov_b64 exec, s[36:37]                                   // 000000009E90: BEFE0124
	v_mov_b32_e32 v6, v43                                      // 000000009E94: 7E0C032B
	s_mov_b64 s[60:61], 0                                      // 000000009E98: BEBC0180
	v_readlane_b32 s82, v3, 6                                  // 000000009E9C: D2890052 00010D03
	s_and_b32 s82, s82, 0xffffff                               // 000000009EA4: 8652FF52 00FFFFFF
	s_cmp_lt_u32 s82, s66                                      // 000000009EAC: BF0A4252
	s_cselect_b32 s20, s36, s60                                // 000000009EB0: 85143C24
	v_readlane_b32 s82, v3, 7                                  // 000000009EB4: D2890052 00010F03
	s_and_b32 s82, s82, 0xffffff                               // 000000009EBC: 8652FF52 00FFFFFF
	s_cmp_lt_u32 s82, s66                                      // 000000009EC4: BF0A4252
	s_cselect_b32 s21, s36, s60                                // 000000009EC8: 85153C24
	s_mov_b64 exec, s[20:21]                                   // 000000009ECC: BEFE0114
	global_atomic_add_f32 v6, v117, s[8:9]                     // 000000009ED0: DD348000 00087506
	global_atomic_add_f32 v6, v121, s[8:9] offset:256          // 000000009ED8: DD348100 00087906
	global_atomic_add_f32 v6, v125, s[8:9] offset:512          // 000000009EE0: DD348200 00087D06
	global_atomic_add_f32 v6, v129, s[8:9] offset:768          // 000000009EE8: DD348300 00088106
	s_mov_b64 exec, s[36:37]                                   // 000000009EF0: BEFE0124
	v_mov_b32_e32 v6, v44                                      // 000000009EF4: 7E0C032C
	s_mov_b64 s[60:61], 0                                      // 000000009EF8: BEBC0180
	v_readlane_b32 s82, v3, 8                                  // 000000009EFC: D2890052 00011103
	s_and_b32 s82, s82, 0xffffff                               // 000000009F04: 8652FF52 00FFFFFF
	s_cmp_lt_u32 s82, s66                                      // 000000009F0C: BF0A4252
	s_cselect_b32 s20, s36, s60                                // 000000009F10: 85143C24
	v_readlane_b32 s82, v3, 9                                  // 000000009F14: D2890052 00011303
	s_and_b32 s82, s82, 0xffffff                               // 000000009F1C: 8652FF52 00FFFFFF
	s_cmp_lt_u32 s82, s66                                      // 000000009F24: BF0A4252
	s_cselect_b32 s21, s36, s60                                // 000000009F28: 85153C24
	s_mov_b64 exec, s[20:21]                                   // 000000009F2C: BEFE0114
	global_atomic_add_f32 v6, v132, s[8:9]                     // 000000009F30: DD348000 00088406
	global_atomic_add_f32 v6, v136, s[8:9] offset:256          // 000000009F38: DD348100 00088806
	global_atomic_add_f32 v6, v140, s[8:9] offset:512          // 000000009F40: DD348200 00088C06
	global_atomic_add_f32 v6, v144, s[8:9] offset:768          // 000000009F48: DD348300 00089006
	s_mov_b64 exec, s[36:37]                                   // 000000009F50: BEFE0124
	v_mov_b32_e32 v6, v45                                      // 000000009F54: 7E0C032D
	s_mov_b64 s[60:61], 0                                      // 000000009F58: BEBC0180
	v_readlane_b32 s82, v3, 10                                 // 000000009F5C: D2890052 00011503
	s_and_b32 s82, s82, 0xffffff                               // 000000009F64: 8652FF52 00FFFFFF
	s_cmp_lt_u32 s82, s66                                      // 000000009F6C: BF0A4252
	s_cselect_b32 s20, s36, s60                                // 000000009F70: 85143C24
	v_readlane_b32 s82, v3, 11                                 // 000000009F74: D2890052 00011703
	s_and_b32 s82, s82, 0xffffff                               // 000000009F7C: 8652FF52 00FFFFFF
	s_cmp_lt_u32 s82, s66                                      // 000000009F84: BF0A4252
	s_cselect_b32 s21, s36, s60                                // 000000009F88: 85153C24
	s_mov_b64 exec, s[20:21]                                   // 000000009F8C: BEFE0114
	global_atomic_add_f32 v6, v133, s[8:9]                     // 000000009F90: DD348000 00088506
	global_atomic_add_f32 v6, v137, s[8:9] offset:256          // 000000009F98: DD348100 00088906
	global_atomic_add_f32 v6, v141, s[8:9] offset:512          // 000000009FA0: DD348200 00088D06
	global_atomic_add_f32 v6, v145, s[8:9] offset:768          // 000000009FA8: DD348300 00089106
	s_mov_b64 exec, s[36:37]                                   // 000000009FB0: BEFE0124
	ds_write_b64 v20, v[102:103]                               // 000000009FB4: D89A0000 00006614
	ds_write_b64 v20, v[106:107] offset:8704                   // 000000009FBC: D89A2200 00006A14
	ds_write_b64 v20, v[110:111] offset:17408                  // 000000009FC4: D89A4400 00006E14
	ds_write_b64 v20, v[114:115] offset:2176                   // 000000009FCC: D89A0880 00007214
	ds_write_b64 v20, v[118:119] offset:10880                  // 000000009FD4: D89A2A80 00007614
	ds_write_b64 v20, v[122:123] offset:19584                  // 000000009FDC: D89A4C80 00007A14
	ds_write_b64 v20, v[126:127] offset:4352                   // 000000009FE4: D89A1100 00007E14
	ds_write_b64 v20, v[130:131] offset:13056                  // 000000009FEC: D89A3300 00008214
	ds_write_b64 v20, v[134:135] offset:21760                  // 000000009FF4: D89A5500 00008614
	ds_write_b64 v20, v[138:139] offset:6528                   // 000000009FFC: D89A1980 00008A14
	ds_write_b64 v20, v[142:143] offset:15232                  // 00000000A004: D89A3B80 00008E14
	ds_write_b64 v20, v[146:147] offset:23936                  // 00000000A00C: D89A5D80 00009214
	s_waitcnt lgkmcnt(0)                                       // 00000000A014: BF8CC07F
	s_barrier                                                  // 00000000A018: BF8A0000
	ds_read_b32 v102, v21                                      // 00000000A01C: D86C0000 66000015
	ds_read_b32 v103, v21 offset:64                            // 00000000A024: D86C0040 67000015
	ds_read_b32 v106, v21 offset:2176                          // 00000000A02C: D86C0880 6A000015
	ds_read_b32 v107, v21 offset:2240                          // 00000000A034: D86C08C0 6B000015
	ds_read_b32 v110, v21 offset:4352                          // 00000000A03C: D86C1100 6E000015
	ds_read_b32 v111, v21 offset:4416                          // 00000000A044: D86C1140 6F000015
	ds_read_b32 v114, v21 offset:6528                          // 00000000A04C: D86C1980 72000015
	ds_read_b32 v115, v21 offset:6592                          // 00000000A054: D86C19C0 73000015
	ds_read_b32 v118, v21 offset:8704                          // 00000000A05C: D86C2200 76000015
	ds_read_b32 v119, v21 offset:8768                          // 00000000A064: D86C2240 77000015
	ds_read_b32 v122, v21 offset:10880                         // 00000000A06C: D86C2A80 7A000015
	ds_read_b32 v123, v21 offset:10944                         // 00000000A074: D86C2AC0 7B000015
	ds_read_b32 v126, v21 offset:13056                         // 00000000A07C: D86C3300 7E000015
	ds_read_b32 v127, v21 offset:13120                         // 00000000A084: D86C3340 7F000015
	ds_read_b32 v130, v21 offset:15232                         // 00000000A08C: D86C3B80 82000015
	ds_read_b32 v131, v21 offset:15296                         // 00000000A094: D86C3BC0 83000015
	ds_read_b32 v134, v21 offset:17408                         // 00000000A09C: D86C4400 86000015
	ds_read_b32 v135, v21 offset:17472                         // 00000000A0A4: D86C4440 87000015
	ds_read_b32 v138, v21 offset:19584                         // 00000000A0AC: D86C4C80 8A000015
	ds_read_b32 v139, v21 offset:19648                         // 00000000A0B4: D86C4CC0 8B000015
	ds_read_b32 v142, v21 offset:21760                         // 00000000A0BC: D86C5500 8E000015
	ds_read_b32 v143, v21 offset:21824                         // 00000000A0C4: D86C5540 8F000015
	ds_read_b32 v146, v21 offset:23936                         // 00000000A0CC: D86C5D80 92000015
	ds_read_b32 v147, v21 offset:24000                         // 00000000A0D4: D86C5DC0 93000015
	s_waitcnt lgkmcnt(0)                                       // 00000000A0DC: BF8CC07F
	v_mov_b32_e32 v7, 0                                        // 00000000A0E0: 7E0E0280
	s_mov_b64 exec, s[36:37]                                   // 00000000A0E4: BEFE0124
	v_mov_b32_e32 v6, v40                                      // 00000000A0E8: 7E0C0328
	s_mov_b64 s[60:61], 0                                      // 00000000A0EC: BEBC0180
	v_readlane_b32 s82, v3, 0                                  // 00000000A0F0: D2890052 00010103
	s_and_b32 s82, s82, 0xffffff                               // 00000000A0F8: 8652FF52 00FFFFFF
	s_cmp_lt_u32 s82, s66                                      // 00000000A100: BF0A4252
	s_cselect_b32 s20, s36, s60                                // 00000000A104: 85143C24
	v_readlane_b32 s82, v3, 1                                  // 00000000A108: D2890052 00010303
	s_and_b32 s82, s82, 0xffffff                               // 00000000A110: 8652FF52 00FFFFFF
	s_cmp_lt_u32 s82, s66                                      // 00000000A118: BF0A4252
	s_cselect_b32 s21, s36, s60                                // 00000000A11C: 85153C24
	s_mov_b64 exec, s[20:21]                                   // 00000000A120: BEFE0114
	global_atomic_add_f32 v6, v102, s[8:9] offset:8            // 00000000A124: DD348008 00086606
	global_atomic_add_f32 v6, v106, s[8:9] offset:264          // 00000000A12C: DD348108 00086A06
	global_atomic_add_f32 v6, v110, s[8:9] offset:520          // 00000000A134: DD348208 00086E06
	global_atomic_add_f32 v6, v114, s[8:9] offset:776          // 00000000A13C: DD348308 00087206
	s_mov_b64 exec, s[36:37]                                   // 00000000A144: BEFE0124
	v_mov_b32_e32 v6, v41                                      // 00000000A148: 7E0C0329
	s_mov_b64 s[60:61], 0                                      // 00000000A14C: BEBC0180
	v_readlane_b32 s82, v3, 2                                  // 00000000A150: D2890052 00010503
	s_and_b32 s82, s82, 0xffffff                               // 00000000A158: 8652FF52 00FFFFFF
	s_cmp_lt_u32 s82, s66                                      // 00000000A160: BF0A4252
	s_cselect_b32 s20, s36, s60                                // 00000000A164: 85143C24
	v_readlane_b32 s82, v3, 3                                  // 00000000A168: D2890052 00010703
	s_and_b32 s82, s82, 0xffffff                               // 00000000A170: 8652FF52 00FFFFFF
	s_cmp_lt_u32 s82, s66                                      // 00000000A178: BF0A4252
	s_cselect_b32 s21, s36, s60                                // 00000000A17C: 85153C24
	s_mov_b64 exec, s[20:21]                                   // 00000000A180: BEFE0114
	global_atomic_add_f32 v6, v103, s[8:9] offset:8            // 00000000A184: DD348008 00086706
	global_atomic_add_f32 v6, v107, s[8:9] offset:264          // 00000000A18C: DD348108 00086B06
	global_atomic_add_f32 v6, v111, s[8:9] offset:520          // 00000000A194: DD348208 00086F06
	global_atomic_add_f32 v6, v115, s[8:9] offset:776          // 00000000A19C: DD348308 00087306
	s_mov_b64 exec, s[36:37]                                   // 00000000A1A4: BEFE0124
	v_mov_b32_e32 v6, v42                                      // 00000000A1A8: 7E0C032A
	s_mov_b64 s[60:61], 0                                      // 00000000A1AC: BEBC0180
	v_readlane_b32 s82, v3, 4                                  // 00000000A1B0: D2890052 00010903
	s_and_b32 s82, s82, 0xffffff                               // 00000000A1B8: 8652FF52 00FFFFFF
	s_cmp_lt_u32 s82, s66                                      // 00000000A1C0: BF0A4252
	s_cselect_b32 s20, s36, s60                                // 00000000A1C4: 85143C24
	v_readlane_b32 s82, v3, 5                                  // 00000000A1C8: D2890052 00010B03
	s_and_b32 s82, s82, 0xffffff                               // 00000000A1D0: 8652FF52 00FFFFFF
	s_cmp_lt_u32 s82, s66                                      // 00000000A1D8: BF0A4252
	s_cselect_b32 s21, s36, s60                                // 00000000A1DC: 85153C24
	s_mov_b64 exec, s[20:21]                                   // 00000000A1E0: BEFE0114
	global_atomic_add_f32 v6, v118, s[8:9] offset:8            // 00000000A1E4: DD348008 00087606
	global_atomic_add_f32 v6, v122, s[8:9] offset:264          // 00000000A1EC: DD348108 00087A06
	global_atomic_add_f32 v6, v126, s[8:9] offset:520          // 00000000A1F4: DD348208 00087E06
	global_atomic_add_f32 v6, v130, s[8:9] offset:776          // 00000000A1FC: DD348308 00088206
	s_mov_b64 exec, s[36:37]                                   // 00000000A204: BEFE0124
	v_mov_b32_e32 v6, v43                                      // 00000000A208: 7E0C032B
	s_mov_b64 s[60:61], 0                                      // 00000000A20C: BEBC0180
	v_readlane_b32 s82, v3, 6                                  // 00000000A210: D2890052 00010D03
	s_and_b32 s82, s82, 0xffffff                               // 00000000A218: 8652FF52 00FFFFFF
	s_cmp_lt_u32 s82, s66                                      // 00000000A220: BF0A4252
	s_cselect_b32 s20, s36, s60                                // 00000000A224: 85143C24
	v_readlane_b32 s82, v3, 7                                  // 00000000A228: D2890052 00010F03
	s_and_b32 s82, s82, 0xffffff                               // 00000000A230: 8652FF52 00FFFFFF
	s_cmp_lt_u32 s82, s66                                      // 00000000A238: BF0A4252
	s_cselect_b32 s21, s36, s60                                // 00000000A23C: 85153C24
	s_mov_b64 exec, s[20:21]                                   // 00000000A240: BEFE0114
	global_atomic_add_f32 v6, v119, s[8:9] offset:8            // 00000000A244: DD348008 00087706
	global_atomic_add_f32 v6, v123, s[8:9] offset:264          // 00000000A24C: DD348108 00087B06
	global_atomic_add_f32 v6, v127, s[8:9] offset:520          // 00000000A254: DD348208 00087F06
	global_atomic_add_f32 v6, v131, s[8:9] offset:776          // 00000000A25C: DD348308 00088306
	s_mov_b64 exec, s[36:37]                                   // 00000000A264: BEFE0124
	v_mov_b32_e32 v6, v44                                      // 00000000A268: 7E0C032C
	s_mov_b64 s[60:61], 0                                      // 00000000A26C: BEBC0180
	v_readlane_b32 s82, v3, 8                                  // 00000000A270: D2890052 00011103
	s_and_b32 s82, s82, 0xffffff                               // 00000000A278: 8652FF52 00FFFFFF
	s_cmp_lt_u32 s82, s66                                      // 00000000A280: BF0A4252
	s_cselect_b32 s20, s36, s60                                // 00000000A284: 85143C24
	v_readlane_b32 s82, v3, 9                                  // 00000000A288: D2890052 00011303
	s_and_b32 s82, s82, 0xffffff                               // 00000000A290: 8652FF52 00FFFFFF
	s_cmp_lt_u32 s82, s66                                      // 00000000A298: BF0A4252
	s_cselect_b32 s21, s36, s60                                // 00000000A29C: 85153C24
	s_mov_b64 exec, s[20:21]                                   // 00000000A2A0: BEFE0114
	global_atomic_add_f32 v6, v134, s[8:9] offset:8            // 00000000A2A4: DD348008 00088606
	global_atomic_add_f32 v6, v138, s[8:9] offset:264          // 00000000A2AC: DD348108 00088A06
	global_atomic_add_f32 v6, v142, s[8:9] offset:520          // 00000000A2B4: DD348208 00088E06
	global_atomic_add_f32 v6, v146, s[8:9] offset:776          // 00000000A2BC: DD348308 00089206
	s_mov_b64 exec, s[36:37]                                   // 00000000A2C4: BEFE0124
	v_mov_b32_e32 v6, v45                                      // 00000000A2C8: 7E0C032D
	s_mov_b64 s[60:61], 0                                      // 00000000A2CC: BEBC0180
	v_readlane_b32 s82, v3, 10                                 // 00000000A2D0: D2890052 00011503
	s_and_b32 s82, s82, 0xffffff                               // 00000000A2D8: 8652FF52 00FFFFFF
	s_cmp_lt_u32 s82, s66                                      // 00000000A2E0: BF0A4252
	s_cselect_b32 s20, s36, s60                                // 00000000A2E4: 85143C24
	v_readlane_b32 s82, v3, 11                                 // 00000000A2E8: D2890052 00011703
	s_and_b32 s82, s82, 0xffffff                               // 00000000A2F0: 8652FF52 00FFFFFF
	s_cmp_lt_u32 s82, s66                                      // 00000000A2F8: BF0A4252
	s_cselect_b32 s21, s36, s60                                // 00000000A2FC: 85153C24
	s_mov_b64 exec, s[20:21]                                   // 00000000A300: BEFE0114
	global_atomic_add_f32 v6, v135, s[8:9] offset:8            // 00000000A304: DD348008 00088706
	global_atomic_add_f32 v6, v139, s[8:9] offset:264          // 00000000A30C: DD348108 00088B06
	global_atomic_add_f32 v6, v143, s[8:9] offset:520          // 00000000A314: DD348208 00088F06
	global_atomic_add_f32 v6, v147, s[8:9] offset:776          // 00000000A31C: DD348308 00089306
	s_mov_b64 exec, s[36:37]                                   // 00000000A324: BEFE0124
	s_branch label_1E4E                                        // 00000000A328: BF820000

000000000000a32c <label_1E4E>:
	s_waitcnt vmcnt(0) expcnt(0) lgkmcnt(0)                    // 00000000A32C: BF8C0000
	s_endpgm                                                   // 00000000A330: BF810000
